;; amdgpu-corpus repo=ROCm/rocFFT kind=compiled arch=gfx1030 opt=O3
	.text
	.amdgcn_target "amdgcn-amd-amdhsa--gfx1030"
	.amdhsa_code_object_version 6
	.protected	bluestein_single_back_len255_dim1_dp_op_CI_CI ; -- Begin function bluestein_single_back_len255_dim1_dp_op_CI_CI
	.globl	bluestein_single_back_len255_dim1_dp_op_CI_CI
	.p2align	8
	.type	bluestein_single_back_len255_dim1_dp_op_CI_CI,@function
bluestein_single_back_len255_dim1_dp_op_CI_CI: ; @bluestein_single_back_len255_dim1_dp_op_CI_CI
; %bb.0:
	v_mul_u32_u24_e32 v1, 0xf10, v0
	s_mov_b64 s[62:63], s[2:3]
	s_mov_b64 s[60:61], s[0:1]
	s_load_dwordx4 s[0:3], s[4:5], 0x28
	s_add_u32 s60, s60, s7
	v_lshrrev_b32_e32 v1, 16, v1
	s_addc_u32 s61, s61, 0
	v_mad_u64_u32 v[3:4], null, s6, 3, v[1:2]
	v_mov_b32_e32 v4, 0
	v_mov_b32_e32 v2, v3
	buffer_store_dword v2, off, s[60:63], 0 ; 4-byte Folded Spill
	buffer_store_dword v3, off, s[60:63], 0 offset:4 ; 4-byte Folded Spill
	s_waitcnt lgkmcnt(0)
	v_cmp_gt_u64_e32 vcc_lo, s[0:1], v[3:4]
	s_and_saveexec_b32 s0, vcc_lo
	s_cbranch_execz .LBB0_15
; %bb.1:
	s_clause 0x1
	buffer_load_dword v2, off, s[60:63], 0
	buffer_load_dword v3, off, s[60:63], 0 offset:4
	v_mul_lo_u16 v1, v1, 17
	s_clause 0x1
	s_load_dwordx2 s[12:13], s[4:5], 0x0
	s_load_dwordx2 s[14:15], s[4:5], 0x38
	v_sub_nc_u16 v0, v0, v1
	v_cmp_gt_u16_e32 vcc_lo, 15, v0
	s_waitcnt vmcnt(0)
	v_mov_b32_e32 v3, v2
	v_mul_hi_u32 v2, 0xaaaaaaab, v3
	v_lshrrev_b32_e32 v2, 1, v2
	v_lshl_add_u32 v2, v2, 1, v2
	v_sub_nc_u32_e32 v1, v3, v2
	v_and_b32_e32 v2, 0xffff, v0
	v_mul_u32_u24_e32 v1, 0xff, v1
	v_lshlrev_b32_e32 v0, 4, v2
	v_or_b32_e32 v164, 0xf0, v2
	buffer_store_dword v0, off, s[60:63], 0 offset:12 ; 4-byte Folded Spill
	buffer_store_dword v1, off, s[60:63], 0 offset:16 ; 4-byte Folded Spill
	v_lshlrev_b32_e32 v0, 4, v1
	buffer_store_dword v0, off, s[60:63], 0 offset:20 ; 4-byte Folded Spill
	buffer_store_dword v2, off, s[60:63], 0 offset:8 ; 4-byte Folded Spill
	s_and_saveexec_b32 s1, vcc_lo
	s_cbranch_execz .LBB0_3
; %bb.2:
	buffer_load_dword v153, off, s[60:63], 0 offset:12 ; 4-byte Folded Reload
	s_load_dwordx2 s[6:7], s[4:5], 0x18
	v_lshlrev_b32_e32 v36, 4, v164
	s_waitcnt lgkmcnt(0)
	s_load_dwordx4 s[8:11], s[6:7], 0x0
	s_waitcnt vmcnt(0)
	s_clause 0x7
	global_load_dwordx4 v[0:3], v153, s[12:13] offset:240
	global_load_dwordx4 v[4:7], v153, s[12:13] offset:480
	;; [unrolled: 1-line block ×8, first 2 shown]
	s_clause 0x2
	buffer_load_dword v34, off, s[60:63], 0
	buffer_load_dword v35, off, s[60:63], 0 offset:4
	buffer_load_dword v152, off, s[60:63], 0 offset:8
	v_add_co_u32 v32, s0, s12, v153
	v_add_co_ci_u32_e64 v33, null, s13, 0, s0
	s_waitcnt lgkmcnt(0)
	s_mul_hi_u32 s6, s8, 0xf0
	v_add_co_u32 v128, s0, 0x800, v32
	v_add_co_ci_u32_e64 v129, s0, 0, v33, s0
	s_mul_i32 s0, s9, 0xf0
	s_mul_i32 s7, s8, 0xf0
	s_add_i32 s6, s6, s0
	s_waitcnt vmcnt(2)
	v_mov_b32_e32 v42, v34
	s_waitcnt vmcnt(0)
	v_mad_u64_u32 v[58:59], null, s8, v152, 0
	s_clause 0x1
	global_load_dwordx4 v[32:35], v153, s[12:13]
	global_load_dwordx4 v[36:39], v36, s[12:13]
	v_mad_u64_u32 v[56:57], null, s10, v42, 0
	v_mov_b32_e32 v41, v59
	v_mov_b32_e32 v40, v57
	v_mad_u64_u32 v[62:63], null, s9, v152, v[41:42]
	v_mad_u64_u32 v[59:60], null, s11, v42, v[40:41]
	;; [unrolled: 1-line block ×3, first 2 shown]
	s_clause 0x3
	global_load_dwordx4 v[40:43], v[128:129], off offset:112
	global_load_dwordx4 v[44:47], v[128:129], off offset:352
	;; [unrolled: 1-line block ×4, first 2 shown]
	v_mov_b32_e32 v57, v59
	v_mov_b32_e32 v59, v62
	v_mad_u64_u32 v[61:62], null, s9, v164, v[61:62]
	v_lshlrev_b64 v[56:57], 4, v[56:57]
	v_lshlrev_b64 v[58:59], 4, v[58:59]
	v_add_co_u32 v66, s0, s2, v56
	v_add_co_ci_u32_e64 v67, s0, s3, v57, s0
	v_lshlrev_b64 v[56:57], 4, v[60:61]
	v_add_co_u32 v62, s0, v66, v58
	v_add_co_ci_u32_e64 v63, s0, v67, v59, s0
	v_add_co_u32 v64, s0, v62, s7
	v_add_co_ci_u32_e64 v65, s0, s6, v63, s0
	v_add_co_u32 v56, s0, v66, v56
	v_add_co_ci_u32_e64 v57, s0, v67, v57, s0
	v_add_co_u32 v68, s0, v64, s7
	v_add_co_ci_u32_e64 v69, s0, s6, v65, s0
	global_load_dwordx4 v[56:59], v[56:57], off
	v_add_co_u32 v72, s0, v68, s7
	s_clause 0x1
	global_load_dwordx4 v[60:63], v[62:63], off
	global_load_dwordx4 v[64:67], v[64:65], off
	v_add_co_ci_u32_e64 v73, s0, s6, v69, s0
	v_add_co_u32 v76, s0, v72, s7
	v_add_co_ci_u32_e64 v77, s0, s6, v73, s0
	v_add_co_u32 v80, s0, v76, s7
	s_clause 0x1
	global_load_dwordx4 v[68:71], v[68:69], off
	global_load_dwordx4 v[72:75], v[72:73], off
	v_add_co_ci_u32_e64 v81, s0, s6, v77, s0
	v_add_co_u32 v84, s0, v80, s7
	global_load_dwordx4 v[76:79], v[76:77], off
	v_add_co_ci_u32_e64 v85, s0, s6, v81, s0
	v_add_co_u32 v88, s0, v84, s7
	global_load_dwordx4 v[80:83], v[80:81], off
	v_add_co_ci_u32_e64 v89, s0, s6, v85, s0
	global_load_dwordx4 v[84:87], v[84:85], off
	v_add_co_u32 v92, s0, v88, s7
	v_add_co_ci_u32_e64 v93, s0, s6, v89, s0
	global_load_dwordx4 v[88:91], v[88:89], off
	v_add_co_u32 v96, s0, v92, s7
	;; [unrolled: 3-line block ×8, first 2 shown]
	v_add_co_ci_u32_e64 v133, s0, s6, v125, s0
	s_clause 0x1
	global_load_dwordx4 v[116:119], v[128:129], off offset:1072
	global_load_dwordx4 v[120:123], v[128:129], off offset:1312
	global_load_dwordx4 v[124:127], v[124:125], off
	global_load_dwordx4 v[128:131], v[128:129], off offset:1552
	global_load_dwordx4 v[132:135], v[132:133], off
	s_waitcnt vmcnt(19)
	v_mul_f64 v[138:139], v[58:59], v[38:39]
	v_mul_f64 v[150:151], v[56:57], v[38:39]
	s_waitcnt vmcnt(18)
	v_mul_f64 v[136:137], v[62:63], v[34:35]
	v_mul_f64 v[34:35], v[60:61], v[34:35]
	;; [unrolled: 3-line block ×6, first 2 shown]
	v_fma_f64 v[2:3], v[56:57], v[36:37], v[138:139]
	s_waitcnt vmcnt(13)
	v_mul_f64 v[38:39], v[82:83], v[18:19]
	v_fma_f64 v[60:61], v[60:61], v[32:33], v[136:137]
	v_fma_f64 v[62:63], v[62:63], v[32:33], -v[34:35]
	v_mul_f64 v[18:19], v[80:81], v[18:19]
	v_fma_f64 v[32:33], v[64:65], v[0:1], v[140:141]
	v_fma_f64 v[34:35], v[66:67], v[0:1], -v[142:143]
	s_waitcnt vmcnt(12)
	v_mul_f64 v[0:1], v[86:87], v[22:23]
	v_mul_f64 v[22:23], v[84:85], v[22:23]
	v_fma_f64 v[64:65], v[68:69], v[4:5], v[144:145]
	v_fma_f64 v[66:67], v[70:71], v[4:5], -v[6:7]
	v_fma_f64 v[6:7], v[72:73], v[8:9], v[146:147]
	v_fma_f64 v[8:9], v[74:75], v[8:9], -v[10:11]
	s_waitcnt vmcnt(11)
	v_mul_f64 v[4:5], v[90:91], v[26:27]
	v_mul_f64 v[26:27], v[88:89], v[26:27]
	v_fma_f64 v[10:11], v[76:77], v[12:13], v[148:149]
	v_fma_f64 v[12:13], v[78:79], v[12:13], -v[14:15]
	s_waitcnt vmcnt(10)
	v_mul_f64 v[56:57], v[94:95], v[30:31]
	v_mul_f64 v[30:31], v[92:93], v[30:31]
	s_waitcnt vmcnt(9)
	v_mul_f64 v[68:69], v[98:99], v[42:43]
	v_fma_f64 v[14:15], v[80:81], v[16:17], v[38:39]
	v_mul_f64 v[42:43], v[96:97], v[42:43]
	s_waitcnt vmcnt(8)
	v_mul_f64 v[70:71], v[102:103], v[46:47]
	v_fma_f64 v[16:17], v[82:83], v[16:17], -v[18:19]
	v_mul_f64 v[46:47], v[100:101], v[46:47]
	v_fma_f64 v[18:19], v[84:85], v[20:21], v[0:1]
	buffer_load_dword v1, off, s[60:63], 0 offset:20 ; 4-byte Folded Reload
	s_waitcnt vmcnt(8)
	v_mul_f64 v[72:73], v[106:107], v[50:51]
	v_mul_f64 v[50:51], v[104:105], v[50:51]
	v_fma_f64 v[20:21], v[86:87], v[20:21], -v[22:23]
	s_waitcnt vmcnt(7)
	v_mul_f64 v[74:75], v[110:111], v[54:55]
	v_mul_f64 v[54:55], v[108:109], v[54:55]
	v_fma_f64 v[22:23], v[88:89], v[24:25], v[4:5]
	v_fma_f64 v[24:25], v[90:91], v[24:25], -v[26:27]
	s_waitcnt vmcnt(5)
	v_mul_f64 v[76:77], v[114:115], v[118:119]
	v_mul_f64 v[78:79], v[112:113], v[118:119]
	s_waitcnt vmcnt(3)
	v_mul_f64 v[118:119], v[126:127], v[122:123]
	v_mul_f64 v[122:123], v[124:125], v[122:123]
	;; [unrolled: 3-line block ×3, first 2 shown]
	v_fma_f64 v[26:27], v[92:93], v[28:29], v[56:57]
	v_fma_f64 v[28:29], v[94:95], v[28:29], -v[30:31]
	v_fma_f64 v[38:39], v[96:97], v[40:41], v[68:69]
	v_fma_f64 v[40:41], v[98:99], v[40:41], -v[42:43]
	;; [unrolled: 2-line block ×3, first 2 shown]
	v_fma_f64 v[4:5], v[58:59], v[36:37], -v[150:151]
	v_fma_f64 v[46:47], v[104:105], v[48:49], v[72:73]
	v_fma_f64 v[48:49], v[106:107], v[48:49], -v[50:51]
	v_fma_f64 v[50:51], v[108:109], v[52:53], v[74:75]
	;; [unrolled: 2-line block ×5, first 2 shown]
	v_fma_f64 v[74:75], v[134:135], v[128:129], -v[130:131]
	s_waitcnt vmcnt(0)
	v_lshl_add_u32 v0, v152, 4, v1
	v_add_nc_u32_e32 v1, v1, v153
	ds_write_b128 v0, v[60:63]
	ds_write_b128 v1, v[32:35] offset:240
	ds_write_b128 v1, v[64:67] offset:480
	;; [unrolled: 1-line block ×16, first 2 shown]
.LBB0_3:
	s_or_b32 exec_lo, exec_lo, s1
	s_clause 0x1
	s_load_dwordx2 s[0:1], s[4:5], 0x20
	s_load_dwordx2 s[2:3], s[4:5], 0x8
	s_waitcnt lgkmcnt(0)
	s_waitcnt_vscnt null, 0x0
	s_barrier
	buffer_gl0_inv
                                        ; implicit-def: $vgpr8_vgpr9
                                        ; implicit-def: $vgpr72_vgpr73
                                        ; implicit-def: $vgpr68_vgpr69
                                        ; implicit-def: $vgpr64_vgpr65
                                        ; implicit-def: $vgpr60_vgpr61
                                        ; implicit-def: $vgpr56_vgpr57
                                        ; implicit-def: $vgpr52_vgpr53
                                        ; implicit-def: $vgpr48_vgpr49
                                        ; implicit-def: $vgpr44_vgpr45
                                        ; implicit-def: $vgpr40_vgpr41
                                        ; implicit-def: $vgpr36_vgpr37
                                        ; implicit-def: $vgpr32_vgpr33
                                        ; implicit-def: $vgpr28_vgpr29
                                        ; implicit-def: $vgpr24_vgpr25
                                        ; implicit-def: $vgpr20_vgpr21
                                        ; implicit-def: $vgpr16_vgpr17
                                        ; implicit-def: $vgpr12_vgpr13
	s_and_saveexec_b32 s4, vcc_lo
	s_cbranch_execz .LBB0_5
; %bb.4:
	s_clause 0x1
	buffer_load_dword v0, off, s[60:63], 0 offset:16
	buffer_load_dword v1, off, s[60:63], 0 offset:12
	s_waitcnt vmcnt(0)
	v_lshl_add_u32 v0, v0, 4, v1
	ds_read_b128 v[8:11], v0
	ds_read_b128 v[72:75], v0 offset:240
	ds_read_b128 v[68:71], v0 offset:480
	;; [unrolled: 1-line block ×16, first 2 shown]
.LBB0_5:
	s_or_b32 exec_lo, exec_lo, s4
	s_waitcnt lgkmcnt(0)
	v_add_f64 v[134:135], v[74:75], -v[14:15]
	v_add_f64 v[138:139], v[72:73], -v[12:13]
	s_mov_b32 s4, 0x5d8e7cdc
	s_mov_b32 s6, 0x2a9d6da3
	;; [unrolled: 1-line block ×4, first 2 shown]
	v_add_f64 v[130:131], v[72:73], v[12:13]
	v_add_f64 v[136:137], v[74:75], v[14:15]
	v_add_f64 v[78:79], v[70:71], -v[18:19]
	v_add_f64 v[76:77], v[68:69], -v[16:17]
	s_mov_b32 s8, 0x370991
	s_mov_b32 s10, 0x75d4884
	;; [unrolled: 1-line block ×6, first 2 shown]
	v_add_f64 v[80:81], v[68:69], v[16:17]
	v_add_f64 v[108:109], v[70:71], v[18:19]
	v_add_f64 v[106:107], v[66:67], -v[22:23]
	v_add_f64 v[82:83], v[64:65], -v[20:21]
	s_mov_b32 s42, 0x7c9e640b
	s_mov_b32 s16, 0x3259b75e
	v_mul_f64 v[144:145], v[134:135], s[4:5]
	v_mul_f64 v[150:151], v[138:139], s[4:5]
	;; [unrolled: 1-line block ×4, first 2 shown]
	s_mov_b32 s18, 0x6c9a05f6
	s_mov_b32 s43, 0xbfeca52d
	;; [unrolled: 1-line block ×4, first 2 shown]
	v_mul_f64 v[154:155], v[78:79], s[6:7]
	v_mul_f64 v[156:157], v[76:77], s[6:7]
	;; [unrolled: 1-line block ×4, first 2 shown]
	v_add_f64 v[84:85], v[64:65], v[20:21]
	v_add_f64 v[112:113], v[66:67], v[22:23]
	v_add_f64 v[86:87], v[60:61], -v[24:25]
	v_add_f64 v[110:111], v[62:63], -v[26:27]
	s_mov_b32 s28, 0x2b2883cd
	s_mov_b32 s20, 0x6ed5f1bb
	v_mul_f64 v[162:163], v[106:107], s[42:43]
	v_mul_f64 v[165:166], v[82:83], s[42:43]
	v_mul_f64 v[146:147], v[106:107], s[18:19]
	v_mul_f64 v[148:149], v[82:83], s[18:19]
	v_fma_f64 v[0:1], v[130:131], s[8:9], v[144:145]
	v_fma_f64 v[2:3], v[136:137], s[8:9], -v[150:151]
	v_fma_f64 v[4:5], v[130:131], s[10:11], v[201:202]
	v_fma_f64 v[6:7], v[136:137], s[10:11], -v[203:204]
	s_mov_b32 s22, 0xacd6c6b4
	s_mov_b32 s29, 0x3fdc86fa
	;; [unrolled: 1-line block ×4, first 2 shown]
	v_fma_f64 v[92:93], v[80:81], s[10:11], v[154:155]
	v_fma_f64 v[94:95], v[108:109], s[10:11], -v[156:157]
	v_fma_f64 v[96:97], v[80:81], s[16:17], v[140:141]
	v_fma_f64 v[98:99], v[108:109], s[16:17], -v[142:143]
	v_add_f64 v[88:89], v[60:61], v[24:25]
	v_add_f64 v[116:117], v[62:63], v[26:27]
	v_add_f64 v[90:91], v[56:57], -v[28:29]
	v_add_f64 v[114:115], v[58:59], -v[30:31]
	v_mul_f64 v[171:172], v[110:111], s[24:25]
	v_mul_f64 v[173:174], v[86:87], s[24:25]
	v_mul_f64 v[152:153], v[110:111], s[22:23]
	v_mul_f64 v[158:159], v[86:87], s[22:23]
	v_fma_f64 v[100:101], v[84:85], s[28:29], v[162:163]
	v_fma_f64 v[102:103], v[112:113], s[28:29], -v[165:166]
	v_add_f64 v[0:1], v[8:9], v[0:1]
	v_add_f64 v[2:3], v[10:11], v[2:3]
	v_add_f64 v[4:5], v[8:9], v[4:5]
	v_add_f64 v[6:7], v[10:11], v[6:7]
	v_fma_f64 v[104:105], v[84:85], s[20:21], v[146:147]
	v_fma_f64 v[122:123], v[112:113], s[20:21], -v[148:149]
	s_mov_b32 s30, 0x923c349f
	s_mov_b32 s26, 0x4363dd80
	;; [unrolled: 1-line block ×6, first 2 shown]
	v_add_f64 v[120:121], v[58:59], v[30:31]
	v_add_f64 v[118:119], v[54:55], -v[34:35]
	v_mul_f64 v[183:184], v[90:91], s[30:31]
	v_mul_f64 v[181:182], v[114:115], s[30:31]
	;; [unrolled: 1-line block ×4, first 2 shown]
	v_fma_f64 v[126:127], v[88:89], s[16:17], v[171:172]
	v_fma_f64 v[128:129], v[116:117], s[16:17], -v[173:174]
	v_fma_f64 v[132:133], v[88:89], s[34:35], v[152:153]
	v_fma_f64 v[177:178], v[116:117], s[34:35], -v[158:159]
	v_add_f64 v[0:1], v[92:93], v[0:1]
	v_add_f64 v[2:3], v[94:95], v[2:3]
	v_add_f64 v[4:5], v[96:97], v[4:5]
	v_add_f64 v[6:7], v[98:99], v[6:7]
	v_add_f64 v[92:93], v[56:57], v[28:29]
	v_add_f64 v[94:95], v[52:53], -v[32:33]
	s_mov_b32 s38, 0xc61f0d01
	s_mov_b32 s36, 0x910ea3b9
	;; [unrolled: 1-line block ×6, first 2 shown]
	v_add_f64 v[96:97], v[52:53], v[32:33]
	v_add_f64 v[124:125], v[54:55], v[34:35]
	v_add_f64 v[98:99], v[48:49], -v[36:37]
	v_mul_f64 v[189:190], v[118:119], s[18:19]
	v_mul_f64 v[169:170], v[118:119], s[48:49]
	v_fma_f64 v[185:186], v[120:121], s[38:39], -v[183:184]
	v_fma_f64 v[197:198], v[120:121], s[36:37], -v[167:168]
	s_mov_b32 s47, 0xbfe0d888
	s_mov_b32 s45, 0x3feca52d
	;; [unrolled: 1-line block ×3, first 2 shown]
	v_add_f64 v[0:1], v[100:101], v[0:1]
	v_add_f64 v[2:3], v[102:103], v[2:3]
	v_add_f64 v[4:5], v[104:105], v[4:5]
	v_add_f64 v[6:7], v[122:123], v[6:7]
	v_add_f64 v[122:123], v[50:51], -v[38:39]
	v_mul_f64 v[191:192], v[94:95], s[18:19]
	v_mul_f64 v[175:176], v[94:95], s[48:49]
	v_fma_f64 v[104:105], v[92:93], s[38:39], v[181:182]
	v_fma_f64 v[187:188], v[92:93], s[36:37], v[160:161]
	s_mov_b32 s44, s42
	v_add_f64 v[100:101], v[48:49], v[36:37]
	v_add_f64 v[102:103], v[44:45], -v[40:41]
	s_mov_b32 s41, 0x3fd71e95
	s_mov_b32 s40, s4
	v_mul_f64 v[195:196], v[98:99], s[46:47]
	v_mul_f64 v[179:180], v[98:99], s[44:45]
	v_fma_f64 v[210:211], v[96:97], s[20:21], v[189:190]
	v_fma_f64 v[214:215], v[96:97], s[38:39], v[169:170]
	s_barrier
	buffer_gl0_inv
	v_add_f64 v[0:1], v[126:127], v[0:1]
	v_add_f64 v[2:3], v[128:129], v[2:3]
	;; [unrolled: 1-line block ×5, first 2 shown]
	v_add_f64 v[126:127], v[46:47], -v[42:43]
	v_mul_f64 v[193:194], v[122:123], s[46:47]
	v_mul_f64 v[177:178], v[122:123], s[44:45]
	v_fma_f64 v[212:213], v[124:125], s[20:21], -v[191:192]
	v_fma_f64 v[216:217], v[124:125], s[38:39], -v[175:176]
	v_add_f64 v[132:133], v[46:47], v[42:43]
	v_mul_f64 v[199:200], v[102:103], s[22:23]
	v_add_f64 v[0:1], v[104:105], v[0:1]
	v_add_f64 v[2:3], v[185:186], v[2:3]
	v_add_f64 v[4:5], v[187:188], v[4:5]
	v_add_f64 v[6:7], v[197:198], v[6:7]
	v_add_f64 v[104:105], v[44:45], v[40:41]
	v_mul_f64 v[197:198], v[126:127], s[22:23]
	v_mul_f64 v[185:186], v[126:127], s[40:41]
	;; [unrolled: 1-line block ×3, first 2 shown]
	v_fma_f64 v[218:219], v[100:101], s[36:37], v[193:194]
	v_fma_f64 v[220:221], v[128:129], s[36:37], -v[195:196]
	v_fma_f64 v[222:223], v[100:101], s[28:29], v[177:178]
	v_fma_f64 v[224:225], v[128:129], s[28:29], -v[179:180]
	v_add_f64 v[0:1], v[210:211], v[0:1]
	v_add_f64 v[2:3], v[212:213], v[2:3]
	;; [unrolled: 1-line block ×4, first 2 shown]
	v_fma_f64 v[212:213], v[132:133], s[34:35], -v[199:200]
	v_fma_f64 v[210:211], v[104:105], s[34:35], v[197:198]
	v_fma_f64 v[214:215], v[104:105], s[8:9], v[185:186]
	v_fma_f64 v[216:217], v[132:133], s[8:9], -v[187:188]
	v_add_f64 v[0:1], v[218:219], v[0:1]
	v_add_f64 v[2:3], v[220:221], v[2:3]
	;; [unrolled: 1-line block ×8, first 2 shown]
	s_and_saveexec_b32 s33, vcc_lo
	s_cbranch_execz .LBB0_7
; %bb.6:
	v_add_f64 v[72:73], v[8:9], v[72:73]
	v_add_f64 v[74:75], v[10:11], v[74:75]
	s_mov_b32 s55, 0x3fc7851a
	s_mov_b32 s54, s22
	;; [unrolled: 1-line block ×8, first 2 shown]
	v_mul_f64 v[212:213], v[132:133], s[16:17]
	v_mul_f64 v[214:215], v[126:127], s[50:51]
	;; [unrolled: 1-line block ×6, first 2 shown]
	v_add_f64 v[68:69], v[72:73], v[68:69]
	v_add_f64 v[70:71], v[74:75], v[70:71]
	;; [unrolled: 1-line block ×4, first 2 shown]
	v_mul_f64 v[70:71], v[130:131], s[8:9]
	v_add_f64 v[60:61], v[64:65], v[60:61]
	v_add_f64 v[62:63], v[66:67], v[62:63]
	v_add_f64 v[70:71], v[70:71], -v[144:145]
	v_add_f64 v[56:57], v[60:61], v[56:57]
	v_add_f64 v[58:59], v[62:63], v[58:59]
	v_add_f64 v[52:53], v[56:57], v[52:53]
	v_add_f64 v[54:55], v[58:59], v[54:55]
	v_mul_f64 v[56:57], v[134:135], s[42:43]
	v_add_f64 v[48:49], v[52:53], v[48:49]
	v_add_f64 v[50:51], v[54:55], v[50:51]
	v_mul_f64 v[52:53], v[134:135], s[30:31]
	v_mul_f64 v[54:55], v[134:135], s[24:25]
	v_fma_f64 v[68:69], v[130:131], s[28:29], v[56:57]
	v_fma_f64 v[56:57], v[130:131], s[28:29], -v[56:57]
	v_add_f64 v[44:45], v[48:49], v[44:45]
	v_add_f64 v[46:47], v[50:51], v[46:47]
	v_mul_f64 v[48:49], v[134:135], s[46:47]
	v_mul_f64 v[50:51], v[134:135], s[18:19]
	v_fma_f64 v[64:65], v[130:131], s[38:39], v[52:53]
	v_fma_f64 v[52:53], v[130:131], s[38:39], -v[52:53]
	v_fma_f64 v[66:67], v[130:131], s[16:17], v[54:55]
	v_fma_f64 v[54:55], v[130:131], s[16:17], -v[54:55]
	v_add_f64 v[68:69], v[8:9], v[68:69]
	v_add_f64 v[56:57], v[8:9], v[56:57]
	;; [unrolled: 1-line block ×4, first 2 shown]
	v_mul_f64 v[46:47], v[134:135], s[22:23]
	v_mul_f64 v[44:45], v[136:137], s[8:9]
	v_fma_f64 v[60:61], v[130:131], s[36:37], v[48:49]
	v_fma_f64 v[48:49], v[130:131], s[36:37], -v[48:49]
	v_fma_f64 v[62:63], v[130:131], s[20:21], v[50:51]
	v_fma_f64 v[50:51], v[130:131], s[20:21], -v[50:51]
	v_add_f64 v[64:65], v[8:9], v[64:65]
	v_add_f64 v[52:53], v[8:9], v[52:53]
	v_add_f64 v[66:67], v[8:9], v[66:67]
	v_add_f64 v[54:55], v[8:9], v[54:55]
	v_add_f64 v[36:37], v[40:41], v[36:37]
	v_add_f64 v[38:39], v[42:43], v[38:39]
	v_mul_f64 v[42:43], v[130:131], s[10:11]
	v_fma_f64 v[58:59], v[130:131], s[34:35], v[46:47]
	v_fma_f64 v[46:47], v[130:131], s[34:35], -v[46:47]
	v_mul_f64 v[40:41], v[136:137], s[10:11]
	v_add_f64 v[44:45], v[150:151], v[44:45]
	v_add_f64 v[60:61], v[8:9], v[60:61]
	;; [unrolled: 1-line block ×7, first 2 shown]
	v_mul_f64 v[36:37], v[136:137], s[28:29]
	v_add_f64 v[42:43], v[42:43], -v[201:202]
	v_add_f64 v[58:59], v[8:9], v[58:59]
	v_add_f64 v[46:47], v[8:9], v[46:47]
	;; [unrolled: 1-line block ×5, first 2 shown]
	v_mul_f64 v[32:33], v[136:137], s[16:17]
	v_fma_f64 v[38:39], v[138:139], s[44:45], v[36:37]
	v_fma_f64 v[36:37], v[138:139], s[42:43], v[36:37]
	v_add_f64 v[24:25], v[28:29], v[24:25]
	v_add_f64 v[26:27], v[30:31], v[26:27]
	v_mul_f64 v[28:29], v[136:137], s[38:39]
	v_fma_f64 v[34:35], v[138:139], s[50:51], v[32:33]
	v_fma_f64 v[32:33], v[138:139], s[24:25], v[32:33]
	v_add_f64 v[150:151], v[10:11], v[38:39]
	v_add_f64 v[38:39], v[8:9], v[42:43]
	;; [unrolled: 1-line block ×6, first 2 shown]
	v_mul_f64 v[24:25], v[136:137], s[20:21]
	v_fma_f64 v[30:31], v[138:139], s[48:49], v[28:29]
	v_fma_f64 v[28:29], v[138:139], s[30:31], v[28:29]
	v_add_f64 v[144:145], v[10:11], v[32:33]
	v_add_f64 v[32:33], v[10:11], v[44:45]
	;; [unrolled: 1-line block ×3, first 2 shown]
	v_mul_f64 v[20:21], v[136:137], s[36:37]
	v_add_f64 v[18:19], v[22:23], v[18:19]
	v_fma_f64 v[26:27], v[138:139], s[52:53], v[24:25]
	v_fma_f64 v[24:25], v[138:139], s[18:19], v[24:25]
	v_add_f64 v[50:51], v[10:11], v[28:29]
	v_add_f64 v[12:13], v[16:17], v[12:13]
	v_mul_f64 v[16:17], v[136:137], s[34:35]
	v_fma_f64 v[22:23], v[138:139], s[26:27], v[20:21]
	v_fma_f64 v[20:21], v[138:139], s[46:47], v[20:21]
	v_add_f64 v[14:15], v[18:19], v[14:15]
	v_add_f64 v[130:131], v[10:11], v[24:25]
	v_mul_f64 v[24:25], v[112:113], s[36:37]
	v_add_f64 v[74:75], v[10:11], v[26:27]
	v_add_f64 v[136:137], v[10:11], v[30:31]
	v_fma_f64 v[18:19], v[138:139], s[54:55], v[16:17]
	v_fma_f64 v[16:17], v[138:139], s[22:23], v[16:17]
	v_add_f64 v[72:73], v[10:11], v[20:21]
	v_mul_f64 v[20:21], v[108:109], s[8:9]
	v_add_f64 v[138:139], v[10:11], v[34:35]
	v_add_f64 v[34:35], v[8:9], v[70:71]
	v_fma_f64 v[26:27], v[82:83], s[26:27], v[24:25]
	v_add_f64 v[22:23], v[10:11], v[22:23]
	v_add_f64 v[18:19], v[10:11], v[18:19]
	;; [unrolled: 1-line block ×3, first 2 shown]
	v_fma_f64 v[8:9], v[76:77], s[4:5], v[20:21]
	v_fma_f64 v[20:21], v[76:77], s[40:41], v[20:21]
	v_add_f64 v[8:9], v[8:9], v[18:19]
	v_mul_f64 v[18:19], v[78:79], s[40:41]
	v_add_f64 v[16:17], v[20:21], v[16:17]
	v_fma_f64 v[20:21], v[82:83], s[46:47], v[24:25]
	v_fma_f64 v[24:25], v[104:105], s[16:17], -v[214:215]
	v_add_f64 v[8:9], v[26:27], v[8:9]
	v_fma_f64 v[10:11], v[80:81], s[8:9], v[18:19]
	v_mul_f64 v[26:27], v[106:107], s[46:47]
	v_fma_f64 v[18:19], v[80:81], s[8:9], -v[18:19]
	v_add_f64 v[16:17], v[20:21], v[16:17]
	v_add_f64 v[10:11], v[10:11], v[58:59]
	v_fma_f64 v[28:29], v[84:85], s[36:37], v[26:27]
	v_add_f64 v[18:19], v[18:19], v[46:47]
	v_fma_f64 v[20:21], v[84:85], s[36:37], -v[26:27]
	v_mul_f64 v[26:27], v[78:79], s[44:45]
	v_add_f64 v[10:11], v[28:29], v[10:11]
	v_mul_f64 v[28:29], v[116:117], s[10:11]
	v_add_f64 v[18:19], v[20:21], v[18:19]
	v_fma_f64 v[30:31], v[86:87], s[6:7], v[28:29]
	v_fma_f64 v[20:21], v[86:87], s[56:57], v[28:29]
	v_mul_f64 v[28:29], v[112:113], s[16:17]
	v_add_f64 v[8:9], v[30:31], v[8:9]
	v_mul_f64 v[30:31], v[110:111], s[56:57]
	v_add_f64 v[16:17], v[20:21], v[16:17]
	v_fma_f64 v[40:41], v[88:89], s[10:11], v[30:31]
	v_fma_f64 v[20:21], v[88:89], s[10:11], -v[30:31]
	v_fma_f64 v[30:31], v[82:83], s[50:51], v[28:29]
	v_fma_f64 v[28:29], v[82:83], s[24:25], v[28:29]
	v_add_f64 v[10:11], v[40:41], v[10:11]
	v_mul_f64 v[40:41], v[120:121], s[20:21]
	v_add_f64 v[18:19], v[20:21], v[18:19]
	v_fma_f64 v[42:43], v[90:91], s[52:53], v[40:41]
	v_fma_f64 v[20:21], v[90:91], s[18:19], v[40:41]
	v_add_f64 v[8:9], v[42:43], v[8:9]
	v_mul_f64 v[42:43], v[114:115], s[18:19]
	v_add_f64 v[16:17], v[20:21], v[16:17]
	v_fma_f64 v[44:45], v[92:93], s[20:21], v[42:43]
	v_fma_f64 v[20:21], v[92:93], s[20:21], -v[42:43]
	v_add_f64 v[10:11], v[44:45], v[10:11]
	v_mul_f64 v[44:45], v[124:125], s[28:29]
	v_add_f64 v[18:19], v[20:21], v[18:19]
	v_fma_f64 v[58:59], v[94:95], s[42:43], v[44:45]
	v_fma_f64 v[20:21], v[94:95], s[44:45], v[44:45]
	v_add_f64 v[8:9], v[58:59], v[8:9]
	v_mul_f64 v[58:59], v[118:119], s[44:45]
	v_add_f64 v[16:17], v[20:21], v[16:17]
	v_fma_f64 v[70:71], v[96:97], s[28:29], v[58:59]
	v_fma_f64 v[20:21], v[96:97], s[28:29], -v[58:59]
	v_add_f64 v[10:11], v[70:71], v[10:11]
	v_mul_f64 v[70:71], v[128:129], s[38:39]
	v_add_f64 v[18:19], v[20:21], v[18:19]
	v_fma_f64 v[203:204], v[98:99], s[48:49], v[70:71]
	v_fma_f64 v[20:21], v[98:99], s[30:31], v[70:71]
	v_add_f64 v[8:9], v[203:204], v[8:9]
	v_mul_f64 v[203:204], v[122:123], s[30:31]
	v_add_f64 v[16:17], v[20:21], v[16:17]
	v_fma_f64 v[20:21], v[100:101], s[38:39], -v[203:204]
	v_fma_f64 v[210:211], v[100:101], s[38:39], v[203:204]
	v_add_f64 v[20:21], v[20:21], v[18:19]
	v_fma_f64 v[18:19], v[102:103], s[50:51], v[212:213]
	v_add_f64 v[210:211], v[210:211], v[10:11]
	v_fma_f64 v[10:11], v[102:103], s[24:25], v[212:213]
	v_mul_f64 v[212:213], v[132:133], s[38:39]
	v_add_f64 v[18:19], v[18:19], v[16:17]
	v_add_f64 v[16:17], v[24:25], v[20:21]
	v_mul_f64 v[24:25], v[108:109], s[28:29]
	v_add_f64 v[10:11], v[10:11], v[8:9]
	v_fma_f64 v[8:9], v[104:105], s[16:17], v[214:215]
	v_mul_f64 v[214:215], v[126:127], s[30:31]
	v_fma_f64 v[20:21], v[76:77], s[42:43], v[24:25]
	v_fma_f64 v[24:25], v[76:77], s[44:45], v[24:25]
	v_add_f64 v[8:9], v[8:9], v[210:211]
	v_add_f64 v[20:21], v[20:21], v[22:23]
	v_fma_f64 v[22:23], v[80:81], s[28:29], v[26:27]
	v_add_f64 v[24:25], v[24:25], v[72:73]
	v_fma_f64 v[26:27], v[80:81], s[28:29], -v[26:27]
	v_mul_f64 v[72:73], v[116:117], s[36:37]
	v_add_f64 v[20:21], v[30:31], v[20:21]
	v_mul_f64 v[30:31], v[106:107], s[24:25]
	v_add_f64 v[22:23], v[22:23], v[60:61]
	v_add_f64 v[26:27], v[26:27], v[48:49]
	v_add_f64 v[24:25], v[28:29], v[24:25]
	v_mul_f64 v[48:49], v[116:117], s[16:17]
	v_fma_f64 v[40:41], v[84:85], s[16:17], v[30:31]
	v_fma_f64 v[28:29], v[84:85], s[16:17], -v[30:31]
	v_fma_f64 v[30:31], v[104:105], s[38:39], -v[214:215]
	v_add_f64 v[48:49], v[173:174], v[48:49]
	v_mul_f64 v[173:174], v[108:109], s[34:35]
	v_add_f64 v[22:23], v[40:41], v[22:23]
	v_mul_f64 v[40:41], v[116:117], s[20:21]
	v_add_f64 v[26:27], v[28:29], v[26:27]
	v_fma_f64 v[42:43], v[86:87], s[18:19], v[40:41]
	v_fma_f64 v[28:29], v[86:87], s[52:53], v[40:41]
	v_add_f64 v[20:21], v[42:43], v[20:21]
	v_mul_f64 v[42:43], v[110:111], s[52:53]
	v_add_f64 v[24:25], v[28:29], v[24:25]
	v_fma_f64 v[44:45], v[88:89], s[20:21], v[42:43]
	v_fma_f64 v[28:29], v[88:89], s[20:21], -v[42:43]
	v_mul_f64 v[42:43], v[80:81], s[10:11]
	v_add_f64 v[22:23], v[44:45], v[22:23]
	v_mul_f64 v[44:45], v[120:121], s[8:9]
	v_add_f64 v[26:27], v[28:29], v[26:27]
	v_add_f64 v[42:43], v[42:43], -v[154:155]
	v_mul_f64 v[154:155], v[88:89], s[16:17]
	v_fma_f64 v[46:47], v[90:91], s[40:41], v[44:45]
	v_fma_f64 v[28:29], v[90:91], s[4:5], v[44:45]
	v_mul_f64 v[44:45], v[112:113], s[28:29]
	v_add_f64 v[34:35], v[42:43], v[34:35]
	v_add_f64 v[154:155], v[154:155], -v[171:172]
	v_mul_f64 v[42:43], v[96:97], s[20:21]
	v_mul_f64 v[171:172], v[126:127], s[46:47]
	v_add_f64 v[20:21], v[46:47], v[20:21]
	v_mul_f64 v[46:47], v[114:115], s[4:5]
	v_add_f64 v[24:25], v[28:29], v[24:25]
	v_add_f64 v[44:45], v[165:166], v[44:45]
	v_mul_f64 v[165:166], v[128:129], s[16:17]
	v_add_f64 v[42:43], v[42:43], -v[189:190]
	v_mul_f64 v[189:190], v[118:119], s[46:47]
	v_fma_f64 v[58:59], v[92:93], s[8:9], v[46:47]
	v_fma_f64 v[28:29], v[92:93], s[8:9], -v[46:47]
	v_mul_f64 v[46:47], v[84:85], s[28:29]
	v_add_f64 v[22:23], v[58:59], v[22:23]
	v_mul_f64 v[58:59], v[124:125], s[34:35]
	v_add_f64 v[26:27], v[28:29], v[26:27]
	v_add_f64 v[46:47], v[46:47], -v[162:163]
	v_mul_f64 v[162:163], v[92:93], s[38:39]
	v_fma_f64 v[60:61], v[94:95], s[54:55], v[58:59]
	v_fma_f64 v[28:29], v[94:95], s[22:23], v[58:59]
	v_mul_f64 v[58:59], v[108:109], s[38:39]
	v_add_f64 v[34:35], v[46:47], v[34:35]
	v_add_f64 v[162:163], v[162:163], -v[181:182]
	v_mul_f64 v[46:47], v[100:101], s[36:37]
	v_mul_f64 v[181:182], v[78:79], s[22:23]
	v_add_f64 v[20:21], v[60:61], v[20:21]
	v_mul_f64 v[60:61], v[118:119], s[22:23]
	v_add_f64 v[24:25], v[28:29], v[24:25]
	v_add_f64 v[34:35], v[154:155], v[34:35]
	v_mul_f64 v[154:155], v[110:111], s[48:49]
	v_add_f64 v[46:47], v[46:47], -v[193:194]
	v_mul_f64 v[193:194], v[122:123], s[52:53]
	v_fma_f64 v[70:71], v[96:97], s[34:35], v[60:61]
	v_fma_f64 v[28:29], v[96:97], s[34:35], -v[60:61]
	v_mul_f64 v[60:61], v[78:79], s[48:49]
	v_add_f64 v[34:35], v[162:163], v[34:35]
	v_mul_f64 v[162:163], v[118:119], s[4:5]
	v_add_f64 v[22:23], v[70:71], v[22:23]
	;; [unrolled: 2-line block ×3, first 2 shown]
	v_add_f64 v[34:35], v[42:43], v[34:35]
	v_mul_f64 v[42:43], v[104:105], s[34:35]
	v_fma_f64 v[203:204], v[98:99], s[6:7], v[70:71]
	v_fma_f64 v[28:29], v[98:99], s[56:57], v[70:71]
	v_mul_f64 v[70:71], v[106:107], s[4:5]
	v_add_f64 v[42:43], v[42:43], -v[197:198]
	v_mul_f64 v[197:198], v[126:127], s[56:57]
	v_mul_f64 v[126:127], v[126:127], s[18:19]
	v_add_f64 v[20:21], v[203:204], v[20:21]
	v_mul_f64 v[203:204], v[122:123], s[56:57]
	v_add_f64 v[24:25], v[28:29], v[24:25]
	v_fma_f64 v[28:29], v[100:101], s[10:11], -v[203:204]
	v_fma_f64 v[210:211], v[100:101], s[10:11], v[203:204]
	v_mul_f64 v[203:204], v[120:121], s[16:17]
	v_add_f64 v[28:29], v[28:29], v[26:27]
	v_fma_f64 v[26:27], v[102:103], s[30:31], v[212:213]
	v_add_f64 v[210:211], v[210:211], v[22:23]
	v_fma_f64 v[22:23], v[102:103], s[48:49], v[212:213]
	v_mul_f64 v[212:213], v[124:125], s[10:11]
	v_add_f64 v[26:27], v[26:27], v[24:25]
	v_add_f64 v[24:25], v[30:31], v[28:29]
	v_fma_f64 v[30:31], v[80:81], s[38:39], v[60:61]
	v_fma_f64 v[28:29], v[76:77], s[30:31], v[58:59]
	v_add_f64 v[22:23], v[22:23], v[20:21]
	v_fma_f64 v[20:21], v[104:105], s[38:39], v[214:215]
	v_mul_f64 v[214:215], v[118:119], s[6:7]
	v_mul_f64 v[118:119], v[118:119], s[50:51]
	v_add_f64 v[30:31], v[30:31], v[62:63]
	v_mul_f64 v[62:63], v[112:113], s[8:9]
	v_add_f64 v[28:29], v[28:29], v[74:75]
	;; [unrolled: 2-line block ×3, first 2 shown]
	v_mul_f64 v[210:211], v[114:115], s[50:51]
	v_fma_f64 v[40:41], v[82:83], s[40:41], v[62:63]
	v_add_f64 v[28:29], v[40:41], v[28:29]
	v_fma_f64 v[40:41], v[84:85], s[8:9], v[70:71]
	v_add_f64 v[30:31], v[40:41], v[30:31]
	;; [unrolled: 2-line block ×12, first 2 shown]
	v_mul_f64 v[40:41], v[108:109], s[10:11]
	v_add_f64 v[40:41], v[156:157], v[40:41]
	v_mul_f64 v[156:157], v[120:121], s[38:39]
	v_add_f64 v[32:33], v[40:41], v[32:33]
	v_add_f64 v[156:157], v[183:184], v[156:157]
	v_mul_f64 v[40:41], v[124:125], s[20:21]
	v_mul_f64 v[183:184], v[106:107], s[48:49]
	v_add_f64 v[32:33], v[44:45], v[32:33]
	v_mul_f64 v[44:45], v[128:129], s[36:37]
	v_add_f64 v[40:41], v[191:192], v[40:41]
	;; [unrolled: 2-line block ×3, first 2 shown]
	v_add_f64 v[44:45], v[195:196], v[44:45]
	v_fma_f64 v[48:49], v[84:85], s[38:39], -v[183:184]
	v_mul_f64 v[195:196], v[132:133], s[10:11]
	v_add_f64 v[32:33], v[156:157], v[32:33]
	v_mul_f64 v[156:157], v[120:121], s[10:11]
	v_add_f64 v[32:33], v[40:41], v[32:33]
	;; [unrolled: 2-line block ×3, first 2 shown]
	v_add_f64 v[40:41], v[199:200], v[40:41]
	v_add_f64 v[44:45], v[46:47], v[34:35]
	;; [unrolled: 1-line block ×3, first 2 shown]
	v_mul_f64 v[40:41], v[108:109], s[16:17]
	v_add_f64 v[32:33], v[42:43], v[44:45]
	v_mul_f64 v[42:43], v[80:81], s[16:17]
	v_mul_f64 v[44:45], v[112:113], s[20:21]
	v_add_f64 v[40:41], v[142:143], v[40:41]
	v_mul_f64 v[142:143], v[112:113], s[34:35]
	v_add_f64 v[42:43], v[42:43], -v[140:141]
	v_add_f64 v[44:45], v[148:149], v[44:45]
	v_mul_f64 v[140:141], v[108:109], s[20:21]
	v_mul_f64 v[148:149], v[106:107], s[54:55]
	;; [unrolled: 1-line block ×3, first 2 shown]
	v_add_f64 v[36:37], v[40:41], v[36:37]
	v_mul_f64 v[40:41], v[84:85], s[20:21]
	v_add_f64 v[38:39], v[42:43], v[38:39]
	v_mul_f64 v[42:43], v[116:117], s[34:35]
	v_add_f64 v[36:37], v[44:45], v[36:37]
	v_add_f64 v[40:41], v[40:41], -v[146:147]
	v_mul_f64 v[44:45], v[88:89], s[34:35]
	v_add_f64 v[42:43], v[158:159], v[42:43]
	v_mul_f64 v[146:147], v[78:79], s[18:19]
	v_mul_f64 v[158:159], v[114:115], s[56:57]
	;; [unrolled: 1-line block ×3, first 2 shown]
	v_add_f64 v[38:39], v[40:41], v[38:39]
	v_mul_f64 v[40:41], v[120:121], s[36:37]
	v_add_f64 v[44:45], v[44:45], -v[152:153]
	v_add_f64 v[36:37], v[42:43], v[36:37]
	v_mul_f64 v[42:43], v[92:93], s[36:37]
	v_mul_f64 v[152:153], v[116:117], s[38:39]
	v_add_f64 v[40:41], v[167:168], v[40:41]
	v_add_f64 v[38:39], v[44:45], v[38:39]
	v_mul_f64 v[44:45], v[124:125], s[38:39]
	v_add_f64 v[42:43], v[42:43], -v[160:161]
	v_mul_f64 v[160:161], v[124:125], s[8:9]
	v_mul_f64 v[167:168], v[122:123], s[24:25]
	;; [unrolled: 1-line block ×3, first 2 shown]
	v_add_f64 v[36:37], v[40:41], v[36:37]
	v_mul_f64 v[40:41], v[96:97], s[38:39]
	v_add_f64 v[44:45], v[175:176], v[44:45]
	v_add_f64 v[38:39], v[42:43], v[38:39]
	v_mul_f64 v[42:43], v[128:129], s[28:29]
	v_mul_f64 v[175:176], v[116:117], s[8:9]
	v_add_f64 v[40:41], v[40:41], -v[169:170]
	v_add_f64 v[36:37], v[44:45], v[36:37]
	v_mul_f64 v[44:45], v[100:101], s[28:29]
	v_add_f64 v[42:43], v[179:180], v[42:43]
	v_mul_f64 v[169:170], v[132:133], s[36:37]
	v_mul_f64 v[179:180], v[124:125], s[36:37]
	v_add_f64 v[38:39], v[40:41], v[38:39]
	v_mul_f64 v[40:41], v[132:133], s[8:9]
	v_add_f64 v[44:45], v[44:45], -v[177:178]
	v_add_f64 v[36:37], v[42:43], v[36:37]
	v_mul_f64 v[42:43], v[104:105], s[8:9]
	v_mul_f64 v[177:178], v[120:121], s[28:29]
	v_add_f64 v[40:41], v[187:188], v[40:41]
	v_add_f64 v[44:45], v[44:45], v[38:39]
	v_mul_f64 v[187:188], v[114:115], s[42:43]
	v_add_f64 v[42:43], v[42:43], -v[185:186]
	v_mul_f64 v[185:186], v[110:111], s[40:41]
	v_mul_f64 v[110:111], v[110:111], s[42:43]
	;; [unrolled: 1-line block ×3, first 2 shown]
	v_add_f64 v[38:39], v[40:41], v[36:37]
	v_fma_f64 v[40:41], v[76:77], s[18:19], v[140:141]
	v_add_f64 v[36:37], v[42:43], v[44:45]
	v_fma_f64 v[42:43], v[82:83], s[54:55], v[142:143]
	v_fma_f64 v[44:45], v[84:85], s[34:35], -v[148:149]
	v_add_f64 v[40:41], v[40:41], v[201:202]
	v_add_f64 v[40:41], v[42:43], v[40:41]
	v_fma_f64 v[42:43], v[80:81], s[20:21], -v[146:147]
	v_add_f64 v[42:43], v[42:43], v[56:57]
	v_mul_f64 v[56:57], v[108:109], s[36:37]
	v_mul_f64 v[108:109], v[112:113], s[10:11]
	v_add_f64 v[42:43], v[44:45], v[42:43]
	v_fma_f64 v[44:45], v[86:87], s[48:49], v[152:153]
	v_add_f64 v[40:41], v[44:45], v[40:41]
	v_fma_f64 v[44:45], v[88:89], s[38:39], -v[154:155]
	v_add_f64 v[42:43], v[44:45], v[42:43]
	v_fma_f64 v[44:45], v[90:91], s[56:57], v[156:157]
	v_add_f64 v[40:41], v[44:45], v[40:41]
	v_fma_f64 v[44:45], v[92:93], s[10:11], -v[158:159]
	;; [unrolled: 4-line block ×5, first 2 shown]
	v_add_f64 v[40:41], v[40:41], v[44:45]
	v_fma_f64 v[44:45], v[76:77], s[22:23], v[173:174]
	v_add_f64 v[44:45], v[44:45], v[144:145]
	v_mul_f64 v[144:145], v[112:113], s[38:39]
	v_mul_f64 v[112:113], v[116:117], s[28:29]
	;; [unrolled: 1-line block ×6, first 2 shown]
	v_fma_f64 v[46:47], v[82:83], s[48:49], v[144:145]
	v_add_f64 v[44:45], v[46:47], v[44:45]
	v_fma_f64 v[46:47], v[86:87], s[40:41], v[175:176]
	v_add_f64 v[44:45], v[46:47], v[44:45]
	;; [unrolled: 2-line block ×4, first 2 shown]
	v_fma_f64 v[46:47], v[80:81], s[34:35], -v[181:182]
	v_add_f64 v[46:47], v[46:47], v[54:55]
	v_fma_f64 v[54:55], v[82:83], s[4:5], v[62:63]
	v_fma_f64 v[62:63], v[104:105], s[20:21], v[126:127]
	v_add_f64 v[46:47], v[48:49], v[46:47]
	v_fma_f64 v[48:49], v[88:89], s[8:9], -v[185:186]
	v_add_f64 v[46:47], v[48:49], v[46:47]
	v_fma_f64 v[48:49], v[92:93], s[28:29], -v[187:188]
	;; [unrolled: 2-line block ×3, first 2 shown]
	v_add_f64 v[46:47], v[48:49], v[46:47]
	v_fma_f64 v[48:49], v[98:99], s[52:53], v[191:192]
	v_add_f64 v[44:45], v[48:49], v[44:45]
	v_fma_f64 v[48:49], v[100:101], s[20:21], -v[193:194]
	v_add_f64 v[48:49], v[48:49], v[46:47]
	v_fma_f64 v[46:47], v[102:103], s[56:57], v[195:196]
	v_add_f64 v[46:47], v[46:47], v[44:45]
	v_fma_f64 v[44:45], v[104:105], s[10:11], -v[197:198]
	v_add_f64 v[44:45], v[44:45], v[48:49]
	v_fma_f64 v[48:49], v[76:77], s[26:27], v[56:57]
	v_fma_f64 v[56:57], v[76:77], s[46:47], v[56:57]
	v_add_f64 v[48:49], v[48:49], v[50:51]
	v_fma_f64 v[50:51], v[82:83], s[56:57], v[108:109]
	v_add_f64 v[56:57], v[56:57], v[136:137]
	v_add_f64 v[48:49], v[50:51], v[48:49]
	v_fma_f64 v[50:51], v[86:87], s[42:43], v[112:113]
	v_add_f64 v[48:49], v[50:51], v[48:49]
	v_fma_f64 v[50:51], v[80:81], s[36:37], -v[78:79]
	v_add_f64 v[50:51], v[50:51], v[52:53]
	v_fma_f64 v[52:53], v[84:85], s[10:11], -v[106:107]
	v_add_f64 v[50:51], v[52:53], v[50:51]
	v_fma_f64 v[52:53], v[90:91], s[22:23], v[116:117]
	v_add_f64 v[48:49], v[52:53], v[48:49]
	v_fma_f64 v[52:53], v[88:89], s[28:29], -v[110:111]
	v_add_f64 v[50:51], v[52:53], v[50:51]
	v_fma_f64 v[52:53], v[94:95], s[50:51], v[120:121]
	;; [unrolled: 4-line block ×3, first 2 shown]
	v_add_f64 v[48:49], v[52:53], v[48:49]
	v_fma_f64 v[52:53], v[96:97], s[16:17], -v[118:119]
	v_add_f64 v[50:51], v[52:53], v[50:51]
	v_fma_f64 v[52:53], v[100:101], s[8:9], -v[122:123]
	v_add_f64 v[52:53], v[52:53], v[50:51]
	v_fma_f64 v[50:51], v[102:103], s[18:19], v[128:129]
	v_add_f64 v[50:51], v[50:51], v[48:49]
	v_fma_f64 v[48:49], v[104:105], s[20:21], -v[126:127]
	v_add_f64 v[48:49], v[48:49], v[52:53]
	v_fma_f64 v[52:53], v[76:77], s[48:49], v[58:59]
	v_fma_f64 v[58:59], v[90:91], s[50:51], v[203:204]
	v_add_f64 v[52:53], v[52:53], v[130:131]
	v_add_f64 v[52:53], v[54:55], v[52:53]
	v_fma_f64 v[54:55], v[86:87], s[46:47], v[72:73]
	v_fma_f64 v[72:73], v[86:87], s[30:31], v[152:153]
	v_add_f64 v[52:53], v[54:55], v[52:53]
	v_fma_f64 v[54:55], v[80:81], s[38:39], -v[60:61]
	v_fma_f64 v[60:61], v[104:105], s[28:29], -v[222:223]
	v_add_f64 v[52:53], v[58:59], v[52:53]
	v_add_f64 v[54:55], v[54:55], v[134:135]
	v_fma_f64 v[58:59], v[84:85], s[8:9], -v[70:71]
	v_fma_f64 v[70:71], v[82:83], s[22:23], v[142:143]
	v_add_f64 v[54:55], v[58:59], v[54:55]
	v_fma_f64 v[58:59], v[88:89], s[36:37], -v[74:75]
	v_add_f64 v[54:55], v[58:59], v[54:55]
	v_fma_f64 v[58:59], v[94:95], s[6:7], v[212:213]
	v_add_f64 v[52:53], v[58:59], v[52:53]
	v_fma_f64 v[58:59], v[92:93], s[16:17], -v[210:211]
	v_add_f64 v[54:55], v[58:59], v[54:55]
	v_fma_f64 v[58:59], v[98:99], s[22:23], v[216:217]
	v_add_f64 v[52:53], v[58:59], v[52:53]
	v_fma_f64 v[58:59], v[96:97], s[10:11], -v[214:215]
	v_add_f64 v[54:55], v[58:59], v[54:55]
	v_fma_f64 v[58:59], v[100:101], s[34:35], -v[218:219]
	v_add_f64 v[58:59], v[58:59], v[54:55]
	v_fma_f64 v[54:55], v[102:103], s[44:45], v[220:221]
	v_add_f64 v[54:55], v[54:55], v[52:53]
	v_add_f64 v[52:53], v[60:61], v[58:59]
	v_fma_f64 v[58:59], v[82:83], s[6:7], v[108:109]
	v_fma_f64 v[60:61], v[86:87], s[44:45], v[112:113]
	v_add_f64 v[56:57], v[58:59], v[56:57]
	v_fma_f64 v[58:59], v[80:81], s[36:37], v[78:79]
	v_add_f64 v[56:57], v[60:61], v[56:57]
	v_add_f64 v[58:59], v[58:59], v[64:65]
	v_fma_f64 v[60:61], v[84:85], s[10:11], v[106:107]
	v_fma_f64 v[64:65], v[82:83], s[30:31], v[144:145]
	v_add_f64 v[58:59], v[60:61], v[58:59]
	v_fma_f64 v[60:61], v[90:91], s[54:55], v[116:117]
	v_add_f64 v[56:57], v[60:61], v[56:57]
	;; [unrolled: 2-line block ×9, first 2 shown]
	v_add_f64 v[56:57], v[62:63], v[60:61]
	v_fma_f64 v[60:61], v[76:77], s[54:55], v[173:174]
	v_fma_f64 v[62:63], v[80:81], s[34:35], v[181:182]
	v_add_f64 v[60:61], v[60:61], v[138:139]
	v_add_f64 v[62:63], v[62:63], v[66:67]
	v_fma_f64 v[66:67], v[104:105], s[10:11], v[197:198]
	v_add_f64 v[60:61], v[64:65], v[60:61]
	v_fma_f64 v[64:65], v[84:85], s[38:39], v[183:184]
	;; [unrolled: 2-line block ×11, first 2 shown]
	v_add_f64 v[62:63], v[62:63], v[60:61]
	v_add_f64 v[60:61], v[66:67], v[64:65]
	v_fma_f64 v[64:65], v[76:77], s[52:53], v[140:141]
	v_fma_f64 v[66:67], v[80:81], s[20:21], v[146:147]
	v_add_f64 v[64:65], v[64:65], v[150:151]
	v_add_f64 v[66:67], v[66:67], v[68:69]
	v_fma_f64 v[68:69], v[84:85], s[34:35], v[148:149]
	v_add_f64 v[64:65], v[70:71], v[64:65]
	v_fma_f64 v[70:71], v[88:89], s[38:39], v[154:155]
	;; [unrolled: 2-line block ×10, first 2 shown]
	v_add_f64 v[70:71], v[70:71], v[66:67]
	buffer_load_dword v66, off, s[60:63], 0 offset:8 ; 4-byte Folded Reload
	s_waitcnt vmcnt(0)
	v_mul_lo_u16 v66, v66, 17
	v_and_b32_e32 v74, 0xffff, v66
	v_add_f64 v[66:67], v[68:69], v[64:65]
	buffer_load_dword v68, off, s[60:63], 0 offset:16 ; 4-byte Folded Reload
	v_add_f64 v[64:65], v[72:73], v[70:71]
	s_waitcnt vmcnt(0)
	v_add_lshl_u32 v68, v68, v74, 4
	ds_write_b128 v68, v[12:15]
	ds_write_b128 v68, v[32:35] offset:16
	ds_write_b128 v68, v[36:39] offset:32
	;; [unrolled: 1-line block ×16, first 2 shown]
.LBB0_7:
	s_or_b32 exec_lo, exec_lo, s33
	buffer_load_dword v11, off, s[60:63], 0 offset:8 ; 4-byte Folded Reload
	s_load_dwordx4 s[4:7], s[0:1], 0x0
	s_waitcnt vmcnt(0) lgkmcnt(0)
	s_barrier
	buffer_gl0_inv
	s_mov_b32 s10, 0x134454ff
	s_mov_b32 s11, 0x3fee6f0e
	;; [unrolled: 1-line block ×10, first 2 shown]
	v_add_co_u32 v40, null, v11, 34
	v_lshlrev_b32_e32 v8, 6, v11
	v_lshlrev_b32_e32 v60, 5, v11
	s_clause 0x2
	global_load_dwordx4 v[24:27], v8, s[2:3]
	global_load_dwordx4 v[20:23], v8, s[2:3] offset:16
	global_load_dwordx4 v[228:231], v8, s[2:3] offset:32
	v_and_b32_e32 v9, 0xff, v40
	global_load_dwordx4 v[224:227], v8, s[2:3] offset:48
	v_add_co_u32 v41, s20, s2, v8
	v_add_co_ci_u32_e64 v42, null, s3, 0, s20
	v_mul_lo_u16 v9, 0xf1, v9
	v_lshrrev_b16 v9, 12, v9
	v_mul_lo_u16 v9, v9, 17
	v_sub_nc_u16 v9, v40, v9
	v_lshlrev_b16 v10, 2, v9
	v_and_b32_e32 v8, 0xff, v9
	v_lshlrev_b32_e32 v9, 5, v40
	v_and_b32_e32 v10, 0xfc, v10
	v_lshlrev_b32_e32 v10, 4, v10
	s_clause 0x3
	global_load_dwordx4 v[236:239], v10, s[2:3]
	global_load_dwordx4 v[232:235], v10, s[2:3] offset:16
	global_load_dwordx4 v[248:251], v10, s[2:3] offset:32
	;; [unrolled: 1-line block ×3, first 2 shown]
	buffer_load_dword v10, off, s[60:63], 0 offset:16 ; 4-byte Folded Reload
	s_waitcnt vmcnt(0)
	v_add_lshl_u32 v165, v10, v11, 4
	ds_read_b128 v[43:46], v165 offset:816
	ds_read_b128 v[47:50], v165 offset:1632
	;; [unrolled: 1-line block ×8, first 2 shown]
	ds_read_b128 v[77:80], v165
	ds_read_b128 v[81:84], v165 offset:272
	ds_read_b128 v[85:88], v165 offset:544
	;; [unrolled: 1-line block ×6, first 2 shown]
	s_waitcnt lgkmcnt(8)
	v_mul_f64 v[131:132], v[69:70], v[230:231]
	v_mul_f64 v[109:110], v[49:50], v[22:23]
	v_mul_f64 v[117:118], v[51:52], v[230:231]
	v_mul_f64 v[113:114], v[53:54], v[230:231]
	v_mul_f64 v[119:120], v[57:58], v[226:227]
	v_mul_f64 v[115:116], v[55:56], v[226:227]
	v_mul_f64 v[105:106], v[45:46], v[26:27]
	v_mul_f64 v[107:108], v[43:44], v[26:27]
	v_mul_f64 v[111:112], v[47:48], v[22:23]
	v_mul_f64 v[121:122], v[63:64], v[26:27]
	v_mul_f64 v[123:124], v[61:62], v[26:27]
	v_mul_f64 v[127:128], v[65:66], v[22:23]
	s_waitcnt lgkmcnt(7)
	v_mul_f64 v[135:136], v[73:74], v[226:227]
	v_mul_f64 v[125:126], v[67:68], v[22:23]
	;; [unrolled: 1-line block ×4, first 2 shown]
	v_fma_f64 v[71:72], v[71:72], v[228:229], v[131:132]
	v_fma_f64 v[47:48], v[47:48], v[20:21], -v[109:110]
	v_fma_f64 v[53:54], v[53:54], v[228:229], v[117:118]
	s_waitcnt lgkmcnt(0)
	v_mul_f64 v[117:118], v[103:104], v[14:15]
	v_fma_f64 v[55:56], v[55:56], v[224:225], -v[119:120]
	v_mul_f64 v[119:120], v[101:102], v[14:15]
	v_fma_f64 v[43:44], v[43:44], v[24:25], -v[105:106]
	v_fma_f64 v[45:46], v[45:46], v[24:25], v[107:108]
	v_fma_f64 v[49:50], v[49:50], v[20:21], v[111:112]
	v_fma_f64 v[51:52], v[51:52], v[228:229], -v[113:114]
	v_fma_f64 v[57:58], v[57:58], v[224:225], v[115:116]
	v_fma_f64 v[61:62], v[61:62], v[24:25], -v[121:122]
	v_fma_f64 v[63:64], v[63:64], v[24:25], v[123:124]
	v_fma_f64 v[67:68], v[67:68], v[20:21], v[127:128]
	;; [unrolled: 1-line block ×3, first 2 shown]
	v_mul_f64 v[105:106], v[91:92], v[238:239]
	v_mul_f64 v[109:110], v[95:96], v[234:235]
	;; [unrolled: 1-line block ×5, first 2 shown]
	v_fma_f64 v[65:66], v[65:66], v[20:21], -v[125:126]
	v_fma_f64 v[69:70], v[69:70], v[228:229], -v[129:130]
	v_fma_f64 v[73:74], v[73:74], v[224:225], -v[133:134]
	v_mul_f64 v[107:108], v[89:90], v[238:239]
	v_fma_f64 v[101:102], v[101:102], v[12:13], -v[117:118]
	buffer_store_dword v12, off, s[60:63], 0 offset:56 ; 4-byte Folded Spill
	buffer_store_dword v13, off, s[60:63], 0 offset:60 ; 4-byte Folded Spill
	;; [unrolled: 1-line block ×4, first 2 shown]
	s_waitcnt_vscnt null, 0x0
	v_add_f64 v[121:122], v[77:78], v[43:44]
	v_add_f64 v[129:130], v[43:44], -v[47:48]
	v_add_f64 v[133:134], v[43:44], v[55:56]
	v_add_f64 v[123:124], v[47:48], v[51:52]
	v_add_f64 v[125:126], v[45:46], -v[57:58]
	v_add_f64 v[131:132], v[55:56], -v[51:52]
	;; [unrolled: 1-line block ×4, first 2 shown]
	v_add_f64 v[139:140], v[79:80], v[45:46]
	v_add_f64 v[141:142], v[49:50], v[53:54]
	v_add_f64 v[143:144], v[43:44], -v[55:56]
	v_add_f64 v[43:44], v[45:46], -v[49:50]
	v_add_f64 v[147:148], v[57:58], -v[53:54]
	v_add_f64 v[149:150], v[45:46], v[57:58]
	v_add_f64 v[45:46], v[49:50], -v[45:46]
	v_add_f64 v[151:152], v[53:54], -v[57:58]
	v_add_f64 v[153:154], v[81:82], v[61:62]
	v_add_f64 v[157:158], v[63:64], -v[75:76]
	v_add_f64 v[174:175], v[83:84], v[63:64]
	;; [unrolled: 2-line block ×3, first 2 shown]
	v_add_f64 v[63:64], v[67:68], -v[63:64]
	v_add_f64 v[186:187], v[71:72], -v[75:76]
	v_fma_f64 v[89:90], v[89:90], v[236:237], -v[105:106]
	v_fma_f64 v[93:94], v[93:94], v[232:233], -v[109:110]
	v_fma_f64 v[95:96], v[95:96], v[232:233], v[111:112]
	v_fma_f64 v[97:98], v[97:98], v[248:249], -v[113:114]
	v_fma_f64 v[99:100], v[99:100], v[248:249], v[115:116]
	v_add_f64 v[161:162], v[61:62], -v[65:66]
	v_add_f64 v[166:167], v[73:74], -v[69:70]
	v_fma_f64 v[91:92], v[91:92], v[236:237], v[107:108]
	v_add_f64 v[155:156], v[65:66], v[69:70]
	v_add_f64 v[176:177], v[67:68], v[71:72]
	v_add_f64 v[168:169], v[61:62], v[73:74]
	v_add_f64 v[127:128], v[49:50], -v[53:54]
	v_add_f64 v[145:146], v[47:48], -v[51:52]
	;; [unrolled: 1-line block ×4, first 2 shown]
	v_add_f64 v[47:48], v[121:122], v[47:48]
	v_fma_f64 v[105:106], v[123:124], -0.5, v[77:78]
	v_add_f64 v[107:108], v[129:130], v[131:132]
	v_fma_f64 v[77:78], v[133:134], -0.5, v[77:78]
	;; [unrolled: 2-line block ×4, first 2 shown]
	v_add_f64 v[79:80], v[45:46], v[151:152]
	v_add_f64 v[45:46], v[153:154], v[65:66]
	;; [unrolled: 1-line block ×5, first 2 shown]
	v_add_f64 v[135:136], v[89:90], -v[93:94]
	v_add_f64 v[137:138], v[101:102], -v[97:98]
	v_add_f64 v[151:152], v[95:96], v[99:100]
	v_add_f64 v[49:50], v[139:140], v[49:50]
	;; [unrolled: 1-line block ×4, first 2 shown]
	v_add_f64 v[159:160], v[67:68], -v[71:72]
	v_add_f64 v[61:62], v[61:62], -v[73:74]
	;; [unrolled: 1-line block ×3, first 2 shown]
	v_fma_f64 v[65:66], v[155:156], -0.5, v[81:82]
	v_add_f64 v[67:68], v[174:175], v[67:68]
	v_add_f64 v[182:183], v[75:76], -v[71:72]
	v_fma_f64 v[81:82], v[168:169], -0.5, v[81:82]
	v_add_f64 v[149:150], v[87:88], v[91:92]
	v_add_f64 v[117:118], v[170:171], v[172:173]
	v_add_f64 v[141:142], v[93:94], -v[89:90]
	v_add_f64 v[147:148], v[97:98], -v[101:102]
	;; [unrolled: 1-line block ×5, first 2 shown]
	v_add_f64 v[47:48], v[47:48], v[51:52]
	v_fma_f64 v[170:171], v[127:128], s[18:19], v[77:78]
	v_fma_f64 v[77:78], v[127:128], s[10:11], v[77:78]
	v_add_f64 v[69:70], v[45:46], v[69:70]
	v_fma_f64 v[129:130], v[129:130], -0.5, v[85:86]
	v_add_f64 v[63:64], v[63:64], v[93:94]
	v_add_f64 v[93:94], v[135:136], v[137:138]
	v_fma_f64 v[135:136], v[151:152], -0.5, v[87:88]
	v_add_f64 v[133:134], v[95:96], -v[99:100]
	v_fma_f64 v[51:52], v[125:126], s[10:11], v[105:106]
	v_fma_f64 v[105:106], v[125:126], s[18:19], v[105:106]
	v_add_f64 v[49:50], v[49:50], v[53:54]
	v_fma_f64 v[53:54], v[143:144], s[18:19], v[111:112]
	v_fma_f64 v[111:112], v[143:144], s[10:11], v[111:112]
	;; [unrolled: 1-line block ×4, first 2 shown]
	v_fma_f64 v[85:86], v[139:140], -0.5, v[85:86]
	v_add_f64 v[67:68], v[67:68], v[71:72]
	v_add_f64 v[121:122], v[180:181], v[182:183]
	v_fma_f64 v[180:181], v[159:160], s[18:19], v[81:82]
	v_fma_f64 v[81:82], v[159:160], s[10:11], v[81:82]
	v_add_f64 v[137:138], v[141:142], v[147:148]
	v_add_f64 v[43:44], v[47:48], v[55:56]
	s_barrier
	v_fma_f64 v[77:78], v[125:126], s[16:17], v[77:78]
	v_add_f64 v[47:48], v[69:70], v[73:74]
	buffer_gl0_inv
	v_add_f64 v[97:98], v[63:64], v[97:98]
	v_fma_f64 v[51:52], v[127:128], s[8:9], v[51:52]
	v_fma_f64 v[55:56], v[127:128], s[16:17], v[105:106]
	v_add_f64 v[45:46], v[49:50], v[57:58]
	v_fma_f64 v[53:54], v[145:146], s[16:17], v[53:54]
	v_fma_f64 v[57:58], v[145:146], s[8:9], v[111:112]
	v_fma_f64 v[105:106], v[143:144], s[16:17], v[172:173]
	v_fma_f64 v[111:112], v[143:144], s[8:9], v[174:175]
	v_fma_f64 v[127:128], v[133:134], s[18:19], v[85:86]
	v_fma_f64 v[85:86], v[133:134], s[10:11], v[85:86]
	v_add_f64 v[49:50], v[67:68], v[75:76]
	v_fma_f64 v[147:148], v[157:158], s[8:9], v[180:181]
	v_fma_f64 v[81:82], v[157:158], s[16:17], v[81:82]
	;; [unrolled: 1-line block ×10, first 2 shown]
	v_fma_f64 v[119:120], v[176:177], -0.5, v[83:84]
	v_fma_f64 v[83:84], v[184:185], -0.5, v[83:84]
	v_fma_f64 v[176:177], v[157:158], s[10:11], v[65:66]
	v_fma_f64 v[65:66], v[157:158], s[18:19], v[65:66]
	v_add_f64 v[166:167], v[91:92], v[103:104]
	v_add_f64 v[131:132], v[91:92], -v[103:104]
	v_add_f64 v[91:92], v[95:96], -v[91:92]
	;; [unrolled: 1-line block ×3, first 2 shown]
	v_fma_f64 v[71:72], v[61:62], s[18:19], v[119:120]
	v_fma_f64 v[119:120], v[61:62], s[10:11], v[119:120]
	;; [unrolled: 1-line block ×4, first 2 shown]
	v_add_f64 v[95:96], v[149:150], v[95:96]
	v_add_f64 v[161:162], v[103:104], -v[99:100]
	v_fma_f64 v[69:70], v[159:160], s[8:9], v[176:177]
	v_fma_f64 v[145:146], v[159:160], s[16:17], v[65:66]
	;; [unrolled: 1-line block ×4, first 2 shown]
	v_fma_f64 v[87:88], v[166:167], -0.5, v[87:88]
	v_fma_f64 v[73:74], v[131:132], s[10:11], v[129:130]
	v_fma_f64 v[107:108], v[131:132], s[8:9], v[127:128]
	v_add_f64 v[141:142], v[91:92], v[168:169]
	v_fma_f64 v[91:92], v[125:126], s[8:9], v[170:171]
	v_fma_f64 v[125:126], v[131:132], s[18:19], v[129:130]
	;; [unrolled: 1-line block ×8, first 2 shown]
	v_add_f64 v[95:96], v[95:96], v[99:100]
	v_add_f64 v[139:140], v[155:156], v[161:162]
	v_fma_f64 v[69:70], v[115:116], s[0:1], v[69:70]
	v_add_lshl_u32 v167, v10, v8, 4
	v_add_nc_u32_e32 v8, 0x220, v60
	v_fma_f64 v[143:144], v[153:154], s[10:11], v[87:88]
	v_fma_f64 v[87:88], v[153:154], s[18:19], v[87:88]
	;; [unrolled: 1-line block ×13, first 2 shown]
	v_add_f64 v[85:86], v[97:98], v[101:102]
	v_fma_f64 v[97:98], v[137:138], s[0:1], v[107:108]
	v_fma_f64 v[129:130], v[89:90], s[16:17], v[143:144]
	;; [unrolled: 1-line block ×3, first 2 shown]
	v_add_f64 v[87:88], v[95:96], v[103:104]
	v_fma_f64 v[89:90], v[93:94], s[0:1], v[91:92]
	v_fma_f64 v[93:94], v[93:94], s[0:1], v[99:100]
	;; [unrolled: 1-line block ×7, first 2 shown]
	v_sub_co_u32 v41, s0, v41, v60
	v_subrev_co_ci_u32_e64 v42, s0, 0, v42, s0
	ds_write_b128 v165, v[43:46]
	ds_write_b128 v165, v[47:50] offset:1360
	ds_write_b128 v165, v[51:54] offset:272
	;; [unrolled: 1-line block ×14, first 2 shown]
	s_waitcnt lgkmcnt(0)
	s_barrier
	buffer_gl0_inv
	s_clause 0x3
	global_load_dwordx4 v[205:208], v[41:42], off offset:1088
	global_load_dwordx4 v[76:79], v[41:42], off offset:1104
	global_load_dwordx4 v[244:247], v8, s[2:3] offset:1088
	global_load_dwordx4 v[240:243], v8, s[2:3] offset:1104
	v_add_nc_u32_e32 v8, 0x660, v60
	s_clause 0x1
	global_load_dwordx4 v[12:15], v9, s[2:3] offset:1088
	global_load_dwordx4 v[252:255], v9, s[2:3] offset:1104
	v_add_nc_u32_e32 v9, 0x880, v60
	s_clause 0x3
	global_load_dwordx4 v[36:39], v8, s[2:3] offset:1088
	global_load_dwordx4 v[32:35], v8, s[2:3] offset:1104
	global_load_dwordx4 v[28:31], v9, s[2:3] offset:1088
	global_load_dwordx4 v[16:19], v9, s[2:3] offset:1104
	ds_read_b128 v[80:83], v165 offset:1360
	ds_read_b128 v[84:87], v165 offset:2720
	;; [unrolled: 1-line block ×11, first 2 shown]
	s_mov_b32 s0, 0xe8584caa
	s_mov_b32 s1, 0x3febb67a
	;; [unrolled: 1-line block ×4, first 2 shown]
	s_waitcnt vmcnt(9) lgkmcnt(10)
	v_mul_f64 v[124:125], v[82:83], v[207:208]
	v_mul_f64 v[126:127], v[80:81], v[207:208]
	s_waitcnt vmcnt(8) lgkmcnt(9)
	v_mul_f64 v[128:129], v[86:87], v[78:79]
	v_mul_f64 v[130:131], v[84:85], v[78:79]
	;; [unrolled: 3-line block ×3, first 2 shown]
	s_waitcnt vmcnt(5) lgkmcnt(6)
	v_mul_f64 v[140:141], v[98:99], v[14:15]
	s_waitcnt vmcnt(3) lgkmcnt(4)
	v_mul_f64 v[148:149], v[106:107], v[38:39]
	;; [unrolled: 2-line block ×5, first 2 shown]
	v_mul_f64 v[142:143], v[96:97], v[14:15]
	v_mul_f64 v[150:151], v[104:105], v[38:39]
	;; [unrolled: 1-line block ×9, first 2 shown]
	v_fma_f64 v[168:169], v[80:81], v[205:206], -v[124:125]
	v_fma_f64 v[170:171], v[82:83], v[205:206], v[126:127]
	v_fma_f64 v[128:129], v[84:85], v[76:77], -v[128:129]
	v_fma_f64 v[130:131], v[86:87], v[76:77], v[130:131]
	ds_read_b128 v[80:83], v165
	ds_read_b128 v[84:87], v165 offset:272
	v_fma_f64 v[132:133], v[88:89], v[244:245], -v[132:133]
	v_fma_f64 v[134:135], v[90:91], v[244:245], v[134:135]
	ds_read_b128 v[88:91], v165 offset:544
	ds_read_b128 v[124:127], v165 offset:816
	v_fma_f64 v[96:97], v[96:97], v[12:13], -v[140:141]
	buffer_store_dword v12, off, s[60:63], 0 offset:24 ; 4-byte Folded Spill
	buffer_store_dword v13, off, s[60:63], 0 offset:28 ; 4-byte Folded Spill
	buffer_store_dword v14, off, s[60:63], 0 offset:32 ; 4-byte Folded Spill
	buffer_store_dword v15, off, s[60:63], 0 offset:36 ; 4-byte Folded Spill
	v_fma_f64 v[104:105], v[104:105], v[36:37], -v[148:149]
	buffer_store_dword v36, off, s[60:63], 0 offset:104 ; 4-byte Folded Spill
	buffer_store_dword v37, off, s[60:63], 0 offset:108 ; 4-byte Folded Spill
	buffer_store_dword v38, off, s[60:63], 0 offset:112 ; 4-byte Folded Spill
	buffer_store_dword v39, off, s[60:63], 0 offset:116 ; 4-byte Folded Spill
	;; [unrolled: 5-line block ×5, first 2 shown]
	s_clause 0x1
	buffer_load_dword v8, off, s[60:63], 0 offset:20
	buffer_load_dword v9, off, s[60:63], 0 offset:12
	v_fma_f64 v[92:93], v[92:93], v[240:241], -v[136:137]
	v_fma_f64 v[94:95], v[94:95], v[240:241], v[138:139]
	v_fma_f64 v[100:101], v[100:101], v[252:253], -v[144:145]
	v_fma_f64 v[102:103], v[102:103], v[252:253], v[146:147]
	s_waitcnt lgkmcnt(3)
	v_add_f64 v[136:137], v[80:81], v[168:169]
	v_add_f64 v[138:139], v[168:169], v[128:129]
	v_add_f64 v[144:145], v[170:171], v[130:131]
	v_add_f64 v[146:147], v[168:169], -v[128:129]
	s_waitcnt lgkmcnt(2)
	v_add_f64 v[148:149], v[84:85], v[132:133]
	v_add_f64 v[140:141], v[170:171], -v[130:131]
	s_waitcnt lgkmcnt(1)
	v_add_f64 v[156:157], v[88:89], v[96:97]
	v_add_f64 v[182:183], v[104:105], -v[108:109]
	v_add_f64 v[184:185], v[112:113], v[116:117]
	v_add_f64 v[176:177], v[116:117], v[120:121]
	v_add_f64 v[188:189], v[116:117], -v[120:121]
	v_add_f64 v[152:153], v[134:135], -v[94:95]
	;; [unrolled: 1-line block ×3, first 2 shown]
	v_fma_f64 v[138:139], v[138:139], -0.5, v[80:81]
	v_fma_f64 v[144:145], v[144:145], -0.5, v[82:83]
	v_add_f64 v[80:81], v[136:137], v[128:129]
	v_fma_f64 v[98:99], v[98:99], v[12:13], v[142:143]
	v_add_f64 v[142:143], v[82:83], v[170:171]
	v_fma_f64 v[106:107], v[106:107], v[36:37], v[150:151]
	;; [unrolled: 2-line block ×5, first 2 shown]
	v_add_f64 v[158:159], v[96:97], v[100:101]
	v_add_f64 v[96:97], v[104:105], v[108:109]
	v_add_f64 v[132:133], v[132:133], -v[92:93]
	s_waitcnt lgkmcnt(0)
	v_add_f64 v[170:171], v[124:125], v[104:105]
	v_add_f64 v[92:93], v[148:149], v[92:93]
	v_fma_f64 v[148:149], v[176:177], -0.5, v[112:113]
	v_add_f64 v[104:105], v[156:157], v[100:101]
	v_add_f64 v[112:113], v[184:185], v[120:121]
	s_waitcnt vmcnt(1)
	v_lshl_add_u32 v166, v11, 4, v8
	v_add_f64 v[160:161], v[98:99], -v[102:103]
	v_add_f64 v[162:163], v[90:91], v[98:99]
	v_add_f64 v[98:99], v[98:99], v[102:103]
	;; [unrolled: 1-line block ×4, first 2 shown]
	v_add_f64 v[174:175], v[106:107], -v[110:111]
	v_add_f64 v[186:187], v[114:115], v[118:119]
	v_fma_f64 v[116:117], v[150:151], -0.5, v[84:85]
	v_add_f64 v[180:181], v[118:119], v[122:123]
	v_add_f64 v[118:119], v[118:119], -v[122:123]
	v_fma_f64 v[134:135], v[134:135], -0.5, v[86:87]
	v_add_f64 v[82:83], v[142:143], v[130:131]
	v_fma_f64 v[136:137], v[158:159], -0.5, v[88:89]
	v_fma_f64 v[124:125], v[96:97], -0.5, v[124:125]
	v_add_f64 v[94:95], v[154:155], v[94:95]
	v_add_f64 v[128:129], v[170:171], v[108:109]
	v_fma_f64 v[84:85], v[140:141], s[0:1], v[138:139]
	v_fma_f64 v[88:89], v[140:141], s[2:3], v[138:139]
	v_fma_f64 v[86:87], v[146:147], s[2:3], v[144:145]
	v_add_f64 v[106:107], v[162:163], v[102:103]
	v_fma_f64 v[142:143], v[98:99], -0.5, v[90:91]
	v_add_f64 v[130:131], v[178:179], v[110:111]
	v_fma_f64 v[126:127], v[172:173], -0.5, v[126:127]
	v_fma_f64 v[90:91], v[146:147], s[0:1], v[144:145]
	v_fma_f64 v[96:97], v[152:153], s[0:1], v[116:117]
	v_fma_f64 v[150:151], v[180:181], -0.5, v[114:115]
	v_add_f64 v[114:115], v[186:187], v[122:123]
	v_fma_f64 v[100:101], v[152:153], s[2:3], v[116:117]
	v_fma_f64 v[98:99], v[132:133], s[2:3], v[134:135]
	;; [unrolled: 1-line block ×13, first 2 shown]
	s_waitcnt vmcnt(0)
	v_add_nc_u32_e32 v168, v9, v8
	v_fma_f64 v[118:119], v[188:189], s[2:3], v[150:151]
	v_fma_f64 v[110:111], v[188:189], s[0:1], v[150:151]
	ds_write_b128 v166, v[80:83]
	ds_write_b128 v166, v[92:95] offset:272
	ds_write_b128 v166, v[104:107] offset:544
	ds_write_b128 v166, v[84:87] offset:1360
	ds_write_b128 v166, v[88:91] offset:2720
	ds_write_b128 v166, v[96:99] offset:1632
	ds_write_b128 v166, v[100:103] offset:2992
	ds_write_b128 v168, v[120:123] offset:1904
	ds_write_b128 v168, v[136:139] offset:3264
	ds_write_b128 v166, v[128:131] offset:816
	ds_write_b128 v168, v[132:135] offset:2176
	ds_write_b128 v168, v[124:127] offset:3536
	ds_write_b128 v166, v[112:115] offset:1088
	ds_write_b128 v168, v[116:119] offset:2448
	ds_write_b128 v168, v[108:111] offset:3808
	s_waitcnt lgkmcnt(0)
	s_waitcnt_vscnt null, 0x0
	s_barrier
	buffer_gl0_inv
	s_and_saveexec_b32 s1, vcc_lo
	s_cbranch_execz .LBB0_9
; %bb.8:
	buffer_load_dword v10, off, s[60:63], 0 offset:12 ; 4-byte Folded Reload
	s_add_u32 s2, s12, 0xff0
	s_addc_u32 s3, s13, 0
	s_waitcnt vmcnt(0)
	s_clause 0x8
	global_load_dwordx4 v[140:143], v10, s[2:3]
	global_load_dwordx4 v[144:147], v10, s[2:3] offset:240
	global_load_dwordx4 v[148:151], v10, s[2:3] offset:480
	;; [unrolled: 1-line block ×8, first 2 shown]
	v_add_co_u32 v8, s0, s2, v10
	v_add_co_ci_u32_e64 v9, null, s3, 0, s0
	v_add_co_u32 v218, s0, 0x800, v8
	v_add_co_ci_u32_e64 v219, s0, 0, v9, s0
	v_or_b32_e32 v8, 0xf00, v10
	s_clause 0x3
	global_load_dwordx4 v[181:184], v[218:219], off offset:112
	global_load_dwordx4 v[185:188], v[218:219], off offset:352
	;; [unrolled: 1-line block ×4, first 2 shown]
	ds_read_b128 v[197:200], v166
	ds_read_b128 v[201:204], v166 offset:240
	s_waitcnt vmcnt(12) lgkmcnt(1)
	v_mul_f64 v[210:211], v[199:200], v[142:143]
	v_mul_f64 v[142:143], v[197:198], v[142:143]
	s_waitcnt vmcnt(11) lgkmcnt(0)
	v_mul_f64 v[214:215], v[203:204], v[146:147]
	v_mul_f64 v[146:147], v[201:202], v[146:147]
	v_fma_f64 v[197:198], v[197:198], v[140:141], -v[210:211]
	v_fma_f64 v[199:200], v[199:200], v[140:141], v[142:143]
	ds_read_b128 v[140:143], v166 offset:480
	ds_read_b128 v[210:213], v166 offset:720
	v_fma_f64 v[201:202], v[201:202], v[144:145], -v[214:215]
	v_fma_f64 v[203:204], v[203:204], v[144:145], v[146:147]
	s_waitcnt vmcnt(10) lgkmcnt(1)
	v_mul_f64 v[216:217], v[142:143], v[150:151]
	v_mul_f64 v[144:145], v[140:141], v[150:151]
	s_waitcnt vmcnt(9) lgkmcnt(0)
	v_mul_f64 v[214:215], v[212:213], v[154:155]
	v_mul_f64 v[154:155], v[210:211], v[154:155]
	v_fma_f64 v[140:141], v[140:141], v[148:149], -v[216:217]
	v_fma_f64 v[142:143], v[142:143], v[148:149], v[144:145]
	ds_read_b128 v[144:147], v166 offset:960
	ds_read_b128 v[148:151], v166 offset:1200
	v_fma_f64 v[210:211], v[210:211], v[152:153], -v[214:215]
	v_fma_f64 v[212:213], v[212:213], v[152:153], v[154:155]
	;; [unrolled: 12-line block ×5, first 2 shown]
	s_waitcnt vmcnt(2) lgkmcnt(1)
	v_mul_f64 v[216:217], v[175:176], v[187:188]
	v_mul_f64 v[181:182], v[173:174], v[187:188]
	s_waitcnt vmcnt(1) lgkmcnt(0)
	v_mul_f64 v[214:215], v[179:180], v[191:192]
	v_mul_f64 v[191:192], v[177:178], v[191:192]
	v_fma_f64 v[173:174], v[173:174], v[185:186], -v[216:217]
	v_fma_f64 v[175:176], v[175:176], v[185:186], v[181:182]
	ds_read_b128 v[185:188], v166 offset:2880
	global_load_dwordx4 v[181:184], v[218:219], off offset:1072
	v_fma_f64 v[177:178], v[177:178], v[189:190], -v[214:215]
	v_fma_f64 v[179:180], v[179:180], v[189:190], v[191:192]
	ds_read_b128 v[189:192], v166 offset:3120
	s_waitcnt vmcnt(1) lgkmcnt(1)
	v_mul_f64 v[214:215], v[187:188], v[195:196]
	v_mul_f64 v[195:196], v[185:186], v[195:196]
	v_fma_f64 v[185:186], v[185:186], v[193:194], -v[214:215]
	v_fma_f64 v[187:188], v[187:188], v[193:194], v[195:196]
	global_load_dwordx4 v[193:196], v[218:219], off offset:1312
	s_waitcnt vmcnt(1) lgkmcnt(0)
	v_mul_f64 v[214:215], v[191:192], v[183:184]
	v_mul_f64 v[183:184], v[189:190], v[183:184]
	v_fma_f64 v[189:190], v[189:190], v[181:182], -v[214:215]
	v_fma_f64 v[191:192], v[191:192], v[181:182], v[183:184]
	ds_read_b128 v[181:184], v166 offset:3360
	ds_read_b128 v[214:217], v166 offset:3600
	s_waitcnt vmcnt(0) lgkmcnt(1)
	v_mul_f64 v[220:221], v[183:184], v[195:196]
	v_mul_f64 v[195:196], v[181:182], v[195:196]
	v_fma_f64 v[181:182], v[181:182], v[193:194], -v[220:221]
	v_fma_f64 v[183:184], v[183:184], v[193:194], v[195:196]
	s_clause 0x1
	global_load_dwordx4 v[193:196], v[218:219], off offset:1552
	global_load_dwordx4 v[218:221], v8, s[2:3]
	s_waitcnt vmcnt(1) lgkmcnt(0)
	v_mul_f64 v[222:223], v[216:217], v[195:196]
	v_mul_f64 v[195:196], v[214:215], v[195:196]
	v_fma_f64 v[214:215], v[214:215], v[193:194], -v[222:223]
	v_fma_f64 v[216:217], v[216:217], v[193:194], v[195:196]
	ds_read_b128 v[193:196], v166 offset:3840
	s_waitcnt vmcnt(0) lgkmcnt(0)
	v_mul_f64 v[222:223], v[195:196], v[220:221]
	v_mul_f64 v[220:221], v[193:194], v[220:221]
	v_fma_f64 v[193:194], v[193:194], v[218:219], -v[222:223]
	v_fma_f64 v[195:196], v[195:196], v[218:219], v[220:221]
	ds_write_b128 v166, v[197:200]
	ds_write_b128 v166, v[201:204] offset:240
	ds_write_b128 v166, v[140:143] offset:480
	;; [unrolled: 1-line block ×16, first 2 shown]
.LBB0_9:
	s_or_b32 exec_lo, exec_lo, s1
	s_waitcnt lgkmcnt(0)
	s_barrier
	buffer_gl0_inv
	s_and_saveexec_b32 s0, vcc_lo
	s_cbranch_execz .LBB0_11
; %bb.10:
	ds_read_b128 v[80:83], v166
	ds_read_b128 v[84:87], v166 offset:240
	ds_read_b128 v[88:91], v166 offset:480
	;; [unrolled: 1-line block ×16, first 2 shown]
.LBB0_11:
	s_or_b32 exec_lo, exec_lo, s0
	v_add_nc_u32_e32 v142, 0x220, v168
	v_add_nc_u32_e32 v141, 0x330, v168
	;; [unrolled: 1-line block ×3, first 2 shown]
	s_waitcnt lgkmcnt(0)
	s_barrier
	buffer_gl0_inv
	s_and_saveexec_b32 s33, vcc_lo
	s_cbranch_execz .LBB0_13
; %bb.12:
	buffer_store_dword v140, off, s[60:63], 0 offset:120 ; 4-byte Folded Spill
	buffer_store_dword v141, off, s[60:63], 0 offset:124 ; 4-byte Folded Spill
	v_add_f64 v[140:141], v[82:83], v[86:87]
	buffer_store_dword v142, off, s[60:63], 0 offset:128 ; 4-byte Folded Spill
	v_add_f64 v[142:143], v[80:81], v[84:85]
	v_add_f64 v[168:169], v[84:85], -v[0:1]
	s_mov_b32 s24, 0xacd6c6b4
	s_mov_b32 s25, 0xbfc7851a
	v_add_f64 v[154:155], v[88:89], -v[4:5]
	v_add_f64 v[172:173], v[86:87], v[2:3]
	v_add_f64 v[174:175], v[84:85], v[0:1]
	s_mov_b32 s34, 0x5d8e7cdc
	s_mov_b32 s0, 0x7faef3
	;; [unrolled: 1-line block ×4, first 2 shown]
	v_add_f64 v[152:153], v[90:91], -v[6:7]
	v_add_f64 v[170:171], v[86:87], -v[2:3]
	s_mov_b32 s8, 0x370991
	s_mov_b32 s9, 0x3fedd6d0
	;; [unrolled: 1-line block ×7, first 2 shown]
	v_add_f64 v[140:141], v[140:141], v[90:91]
	s_mov_b32 s29, 0x3fe58eea
	v_add_f64 v[142:143], v[142:143], v[88:89]
	v_mul_f64 v[84:85], v[168:169], s[24:25]
	s_mov_b32 s16, 0x75d4884
	s_mov_b32 s17, 0x3fe7a5f6
	v_mul_f64 v[86:87], v[154:155], s[34:35]
	s_mov_b32 s26, 0x6c9a05f6
	s_mov_b32 s27, 0xbfe9895b
	;; [unrolled: 1-line block ×15, first 2 shown]
	v_add_f64 v[140:141], v[140:141], v[94:95]
	s_mov_b32 s23, 0x3fb79ee6
	v_add_f64 v[142:143], v[142:143], v[92:93]
	s_mov_b32 s45, 0xbfefdd0d
	s_mov_b32 s44, s30
	s_mov_b32 s41, 0x3fe9895b
	s_mov_b32 s40, s26
	s_mov_b32 s39, 0xbfd71e95
	s_mov_b32 s38, s34
	s_mov_b32 s48, s46
	s_mov_b32 s53, 0xbfe58eea
	s_mov_b32 s52, s28
	s_mov_b32 s51, 0xbfeca52d
	s_mov_b32 s50, s42
	v_mov_b32_e32 v12, v244
	v_mov_b32_e32 v13, v245
	;; [unrolled: 1-line block ×8, first 2 shown]
	v_add_f64 v[140:141], v[140:141], v[98:99]
	v_mov_b32_e32 v16, v252
	v_add_f64 v[142:143], v[142:143], v[96:97]
	v_mov_b32_e32 v17, v253
	v_mov_b32_e32 v18, v254
	;; [unrolled: 1-line block ×3, first 2 shown]
	v_add_f64 v[140:141], v[140:141], v[102:103]
	v_add_f64 v[142:143], v[142:143], v[100:101]
	;; [unrolled: 1-line block ×9, first 2 shown]
	v_add_f64 v[142:143], v[136:137], -v[128:129]
	v_add_f64 v[136:137], v[136:137], v[128:129]
	v_add_f64 v[138:139], v[138:139], -v[130:131]
	v_add_f64 v[148:149], v[144:145], v[130:131]
	;; [unrolled: 2-line block ×4, first 2 shown]
	v_add_f64 v[120:121], v[120:121], v[132:133]
	v_mul_f64 v[186:187], v[142:143], s[30:31]
	v_mul_f64 v[188:189], v[138:139], s[30:31]
	;; [unrolled: 1-line block ×8, first 2 shown]
	v_add_f64 v[146:147], v[148:149], v[134:135]
	v_add_f64 v[134:135], v[104:105], -v[124:125]
	v_add_f64 v[148:149], v[128:129], v[132:133]
	v_add_f64 v[128:129], v[106:107], v[126:127]
	v_add_f64 v[132:133], v[106:107], -v[126:127]
	v_add_f64 v[104:105], v[104:105], v[124:125]
	v_add_f64 v[106:107], v[102:103], v[114:115]
	v_mul_f64 v[36:37], v[144:145], s[44:45]
	v_mul_f64 v[60:61], v[144:145], s[40:41]
	;; [unrolled: 1-line block ×3, first 2 shown]
	v_fma_f64 v[42:43], v[140:141], s[2:3], -v[40:41]
	v_fma_f64 v[70:71], v[140:141], s[16:17], -v[68:69]
	v_add_f64 v[146:147], v[146:147], v[126:127]
	v_add_f64 v[126:127], v[100:101], -v[112:113]
	v_add_f64 v[148:149], v[148:149], v[124:125]
	v_add_f64 v[124:125], v[102:103], -v[114:115]
	v_add_f64 v[100:101], v[100:101], v[112:113]
	v_add_f64 v[102:103], v[96:97], v[116:117]
	v_mul_f64 v[28:29], v[134:135], s[38:39]
	v_mul_f64 v[32:33], v[132:133], s[38:39]
	v_fma_f64 v[38:39], v[122:123], s[22:23], -v[36:37]
	v_mul_f64 v[56:57], v[134:135], s[36:37]
	v_fma_f64 v[62:63], v[122:123], s[10:11], -v[60:61]
	v_fma_f64 v[66:67], v[120:121], s[10:11], v[64:65]
	v_add_f64 v[114:115], v[146:147], v[114:115]
	v_add_f64 v[146:147], v[98:99], -v[118:119]
	v_add_f64 v[150:151], v[148:149], v[112:113]
	v_add_f64 v[112:113], v[98:99], v[118:119]
	v_add_f64 v[148:149], v[96:97], -v[116:117]
	v_mul_f64 v[8:9], v[126:127], s[28:29]
	v_fma_f64 v[30:31], v[128:129], s[8:9], -v[28:29]
	v_fma_f64 v[34:35], v[104:105], s[8:9], v[32:33]
	v_mul_f64 v[52:53], v[126:127], s[50:51]
	v_fma_f64 v[58:59], v[128:129], s[2:3], -v[56:57]
	v_add_f64 v[96:97], v[114:115], v[118:119]
	v_add_f64 v[118:119], v[94:95], -v[110:111]
	v_add_f64 v[98:99], v[150:151], v[116:117]
	v_add_f64 v[116:117], v[94:95], v[110:111]
	v_add_f64 v[150:151], v[92:93], -v[108:109]
	v_add_f64 v[114:115], v[92:93], v[108:109]
	v_mul_f64 v[222:223], v[148:149], s[44:45]
	v_fma_f64 v[10:11], v[106:107], s[16:17], -v[8:9]
	v_mul_f64 v[48:49], v[148:149], s[34:35]
	v_fma_f64 v[54:55], v[106:107], s[20:21], -v[52:53]
	v_add_f64 v[92:93], v[96:97], v[110:111]
	v_add_f64 v[110:111], v[88:89], v[4:5]
	;; [unrolled: 1-line block ×4, first 2 shown]
	v_mul_f64 v[88:89], v[170:171], s[24:25]
	v_mul_f64 v[90:91], v[152:153], s[34:35]
	;; [unrolled: 1-line block ×4, first 2 shown]
	v_fma_f64 v[50:51], v[112:113], s[8:9], -v[48:49]
	v_add_f64 v[6:7], v[92:93], v[6:7]
	v_add_f64 v[4:5], v[94:95], v[4:5]
	v_fma_f64 v[92:93], v[110:111], s[8:9], -v[90:91]
	v_fma_f64 v[46:47], v[116:117], s[18:19], -v[44:45]
	v_fma_f64 v[44:45], v[116:117], s[18:19], v[44:45]
	v_add_f64 v[2:3], v[6:7], v[2:3]
	v_fma_f64 v[6:7], v[108:109], s[8:9], v[86:87]
	v_add_f64 v[0:1], v[4:5], v[0:1]
	v_fma_f64 v[4:5], v[172:173], s[0:1], v[84:85]
	v_fma_f64 v[84:85], v[172:173], s[0:1], -v[84:85]
	v_fma_f64 v[86:87], v[108:109], s[8:9], -v[86:87]
	buffer_store_dword v0, off, s[60:63], 0 offset:132 ; 4-byte Folded Spill
	buffer_store_dword v1, off, s[60:63], 0 offset:136 ; 4-byte Folded Spill
	;; [unrolled: 1-line block ×4, first 2 shown]
	v_add_f64 v[4:5], v[82:83], v[4:5]
	v_add_f64 v[84:85], v[82:83], v[84:85]
	;; [unrolled: 1-line block ×3, first 2 shown]
	v_fma_f64 v[6:7], v[174:175], s[0:1], -v[88:89]
	v_add_f64 v[84:85], v[86:87], v[84:85]
	v_fma_f64 v[86:87], v[174:175], s[0:1], v[88:89]
	v_fma_f64 v[88:89], v[110:111], s[8:9], v[90:91]
	v_fma_f64 v[90:91], v[136:137], s[22:23], v[188:189]
	v_add_f64 v[6:7], v[80:81], v[6:7]
	v_add_f64 v[86:87], v[80:81], v[86:87]
	;; [unrolled: 1-line block ×3, first 2 shown]
	v_mul_f64 v[92:93], v[150:151], s[36:37]
	v_add_f64 v[86:87], v[88:89], v[86:87]
	v_fma_f64 v[94:95], v[116:117], s[2:3], v[92:93]
	v_fma_f64 v[88:89], v[116:117], s[2:3], -v[92:93]
	v_mul_f64 v[92:93], v[168:169], s[36:37]
	v_add_f64 v[4:5], v[94:95], v[4:5]
	v_mul_f64 v[94:95], v[118:119], s[36:37]
	v_add_f64 v[84:85], v[88:89], v[84:85]
	v_fma_f64 v[96:97], v[114:115], s[2:3], -v[94:95]
	v_fma_f64 v[88:89], v[114:115], s[2:3], v[94:95]
	v_mul_f64 v[94:95], v[154:155], s[42:43]
	v_add_f64 v[6:7], v[96:97], v[6:7]
	v_mul_f64 v[96:97], v[148:149], s[28:29]
	v_add_f64 v[86:87], v[88:89], v[86:87]
	v_fma_f64 v[98:99], v[112:113], s[16:17], v[96:97]
	v_fma_f64 v[88:89], v[112:113], s[16:17], -v[96:97]
	v_mul_f64 v[96:97], v[170:171], s[36:37]
	v_add_f64 v[4:5], v[98:99], v[4:5]
	v_mul_f64 v[98:99], v[146:147], s[28:29]
	v_add_f64 v[84:85], v[88:89], v[84:85]
	v_fma_f64 v[159:160], v[102:103], s[16:17], -v[98:99]
	v_fma_f64 v[88:89], v[102:103], s[16:17], v[98:99]
	v_mul_f64 v[98:99], v[152:153], s[42:43]
	v_add_f64 v[6:7], v[159:160], v[6:7]
	v_mul_f64 v[159:160], v[126:127], s[26:27]
	v_add_f64 v[86:87], v[88:89], v[86:87]
	v_fma_f64 v[161:162], v[106:107], s[10:11], v[159:160]
	v_fma_f64 v[88:89], v[106:107], s[10:11], -v[159:160]
	v_fma_f64 v[159:160], v[110:111], s[20:21], -v[98:99]
	v_add_f64 v[4:5], v[161:162], v[4:5]
	v_mul_f64 v[161:162], v[124:125], s[26:27]
	v_add_f64 v[84:85], v[88:89], v[84:85]
	v_fma_f64 v[176:177], v[100:101], s[10:11], -v[161:162]
	v_fma_f64 v[88:89], v[100:101], s[10:11], v[161:162]
	v_add_f64 v[6:7], v[176:177], v[6:7]
	v_mul_f64 v[176:177], v[134:135], s[42:43]
	v_add_f64 v[86:87], v[88:89], v[86:87]
	v_fma_f64 v[178:179], v[128:129], s[20:21], v[176:177]
	v_fma_f64 v[88:89], v[128:129], s[20:21], -v[176:177]
	v_add_f64 v[4:5], v[178:179], v[4:5]
	v_mul_f64 v[178:179], v[132:133], s[42:43]
	v_add_f64 v[84:85], v[88:89], v[84:85]
	v_fma_f64 v[180:181], v[104:105], s[20:21], -v[178:179]
	v_fma_f64 v[88:89], v[104:105], s[20:21], v[178:179]
	v_add_f64 v[6:7], v[180:181], v[6:7]
	v_mul_f64 v[180:181], v[144:145], s[46:47]
	v_add_f64 v[86:87], v[88:89], v[86:87]
	v_fma_f64 v[182:183], v[122:123], s[18:19], v[180:181]
	v_fma_f64 v[88:89], v[122:123], s[18:19], -v[180:181]
	v_add_f64 v[4:5], v[182:183], v[4:5]
	v_mul_f64 v[182:183], v[130:131], s[46:47]
	v_add_f64 v[84:85], v[88:89], v[84:85]
	v_fma_f64 v[184:185], v[120:121], s[18:19], -v[182:183]
	v_fma_f64 v[88:89], v[120:121], s[18:19], v[182:183]
	v_add_f64 v[184:185], v[184:185], v[6:7]
	v_fma_f64 v[6:7], v[140:141], s[22:23], v[186:187]
	v_add_f64 v[88:89], v[88:89], v[86:87]
	v_fma_f64 v[86:87], v[140:141], s[22:23], -v[186:187]
	v_add_f64 v[2:3], v[6:7], v[4:5]
	v_fma_f64 v[4:5], v[136:137], s[22:23], -v[188:189]
	v_add_f64 v[0:1], v[4:5], v[184:185]
	v_mul_f64 v[4:5], v[148:149], s[48:49]
	buffer_store_dword v0, off, s[60:63], 0 offset:148 ; 4-byte Folded Spill
	buffer_store_dword v1, off, s[60:63], 0 offset:152 ; 4-byte Folded Spill
	;; [unrolled: 1-line block ×4, first 2 shown]
	v_add_f64 v[0:1], v[90:91], v[88:89]
	v_fma_f64 v[88:89], v[172:173], s[2:3], v[92:93]
	v_fma_f64 v[90:91], v[108:109], s[20:21], v[94:95]
	v_fma_f64 v[92:93], v[172:173], s[2:3], -v[92:93]
	v_fma_f64 v[94:95], v[108:109], s[20:21], -v[94:95]
	v_add_f64 v[2:3], v[86:87], v[84:85]
	buffer_store_dword v0, off, s[60:63], 0 offset:164 ; 4-byte Folded Spill
	buffer_store_dword v1, off, s[60:63], 0 offset:168 ; 4-byte Folded Spill
	;; [unrolled: 1-line block ×4, first 2 shown]
	v_add_f64 v[88:89], v[82:83], v[88:89]
	v_add_f64 v[92:93], v[82:83], v[92:93]
	v_mul_f64 v[84:85], v[134:135], s[26:27]
	v_mul_f64 v[86:87], v[132:133], s[26:27]
	v_fma_f64 v[6:7], v[112:113], s[18:19], -v[4:5]
	v_fma_f64 v[4:5], v[112:113], s[18:19], v[4:5]
	v_add_f64 v[88:89], v[90:91], v[88:89]
	v_fma_f64 v[90:91], v[174:175], s[2:3], -v[96:97]
	v_add_f64 v[92:93], v[94:95], v[92:93]
	v_fma_f64 v[94:95], v[174:175], s[2:3], v[96:97]
	v_fma_f64 v[96:97], v[110:111], s[20:21], v[98:99]
	;; [unrolled: 1-line block ×3, first 2 shown]
	v_add_f64 v[90:91], v[80:81], v[90:91]
	v_add_f64 v[94:95], v[80:81], v[94:95]
	;; [unrolled: 1-line block ×3, first 2 shown]
	v_mul_f64 v[159:160], v[150:151], s[44:45]
	v_add_f64 v[94:95], v[96:97], v[94:95]
	v_fma_f64 v[161:162], v[116:117], s[22:23], v[159:160]
	v_fma_f64 v[96:97], v[116:117], s[22:23], -v[159:160]
	v_mul_f64 v[159:160], v[168:169], s[26:27]
	v_add_f64 v[88:89], v[161:162], v[88:89]
	v_mul_f64 v[161:162], v[118:119], s[44:45]
	v_add_f64 v[92:93], v[96:97], v[92:93]
	v_fma_f64 v[176:177], v[114:115], s[22:23], -v[161:162]
	v_fma_f64 v[96:97], v[114:115], s[22:23], v[161:162]
	v_mul_f64 v[161:162], v[154:155], s[48:49]
	v_add_f64 v[90:91], v[176:177], v[90:91]
	v_mul_f64 v[176:177], v[148:149], s[40:41]
	v_add_f64 v[94:95], v[96:97], v[94:95]
	v_fma_f64 v[178:179], v[112:113], s[10:11], v[176:177]
	v_fma_f64 v[96:97], v[112:113], s[10:11], -v[176:177]
	v_mul_f64 v[176:177], v[170:171], s[26:27]
	v_add_f64 v[88:89], v[178:179], v[88:89]
	v_mul_f64 v[178:179], v[146:147], s[40:41]
	v_add_f64 v[92:93], v[96:97], v[92:93]
	v_fma_f64 v[180:181], v[102:103], s[10:11], -v[178:179]
	v_fma_f64 v[96:97], v[102:103], s[10:11], v[178:179]
	v_mul_f64 v[178:179], v[152:153], s[48:49]
	v_add_f64 v[90:91], v[180:181], v[90:91]
	v_mul_f64 v[180:181], v[126:127], s[38:39]
	v_add_f64 v[94:95], v[96:97], v[94:95]
	v_fma_f64 v[182:183], v[106:107], s[8:9], v[180:181]
	v_fma_f64 v[96:97], v[106:107], s[8:9], -v[180:181]
	v_fma_f64 v[180:181], v[110:111], s[18:19], -v[178:179]
	v_add_f64 v[88:89], v[182:183], v[88:89]
	v_mul_f64 v[182:183], v[124:125], s[38:39]
	v_add_f64 v[92:93], v[96:97], v[92:93]
	v_fma_f64 v[184:185], v[100:101], s[8:9], -v[182:183]
	v_fma_f64 v[96:97], v[100:101], s[8:9], v[182:183]
	v_add_f64 v[90:91], v[184:185], v[90:91]
	v_mul_f64 v[184:185], v[134:135], s[24:25]
	v_add_f64 v[94:95], v[96:97], v[94:95]
	v_fma_f64 v[186:187], v[128:129], s[0:1], v[184:185]
	v_fma_f64 v[96:97], v[128:129], s[0:1], -v[184:185]
	v_add_f64 v[88:89], v[186:187], v[88:89]
	v_mul_f64 v[186:187], v[132:133], s[24:25]
	v_add_f64 v[92:93], v[96:97], v[92:93]
	v_fma_f64 v[188:189], v[104:105], s[0:1], -v[186:187]
	v_fma_f64 v[96:97], v[104:105], s[0:1], v[186:187]
	v_add_f64 v[90:91], v[188:189], v[90:91]
	v_mul_f64 v[188:189], v[144:145], s[28:29]
	v_add_f64 v[94:95], v[96:97], v[94:95]
	v_fma_f64 v[190:191], v[122:123], s[16:17], v[188:189]
	v_fma_f64 v[96:97], v[122:123], s[16:17], -v[188:189]
	v_add_f64 v[88:89], v[190:191], v[88:89]
	v_mul_f64 v[190:191], v[130:131], s[28:29]
	v_add_f64 v[92:93], v[96:97], v[92:93]
	v_fma_f64 v[192:193], v[120:121], s[16:17], -v[190:191]
	v_fma_f64 v[96:97], v[120:121], s[16:17], v[190:191]
	v_add_f64 v[192:193], v[192:193], v[90:91]
	v_fma_f64 v[90:91], v[140:141], s[18:19], v[194:195]
	v_add_f64 v[96:97], v[96:97], v[94:95]
	v_fma_f64 v[94:95], v[140:141], s[18:19], -v[194:195]
	v_add_f64 v[2:3], v[90:91], v[88:89]
	v_fma_f64 v[88:89], v[136:137], s[18:19], -v[196:197]
	v_mul_f64 v[90:91], v[130:131], s[42:43]
	v_add_f64 v[0:1], v[88:89], v[192:193]
	buffer_store_dword v0, off, s[60:63], 0 offset:180 ; 4-byte Folded Spill
	buffer_store_dword v1, off, s[60:63], 0 offset:184 ; 4-byte Folded Spill
	;; [unrolled: 1-line block ×4, first 2 shown]
	v_add_f64 v[0:1], v[98:99], v[96:97]
	v_fma_f64 v[96:97], v[172:173], s[10:11], v[159:160]
	v_fma_f64 v[98:99], v[108:109], s[18:19], v[161:162]
	v_fma_f64 v[159:160], v[172:173], s[10:11], -v[159:160]
	v_fma_f64 v[161:162], v[108:109], s[18:19], -v[161:162]
	v_add_f64 v[2:3], v[94:95], v[92:93]
	buffer_store_dword v0, off, s[60:63], 0 offset:196 ; 4-byte Folded Spill
	buffer_store_dword v1, off, s[60:63], 0 offset:200 ; 4-byte Folded Spill
	;; [unrolled: 1-line block ×4, first 2 shown]
	v_add_f64 v[96:97], v[82:83], v[96:97]
	v_add_f64 v[159:160], v[82:83], v[159:160]
	v_mul_f64 v[88:89], v[124:125], s[46:47]
	v_mul_f64 v[92:93], v[144:145], s[36:37]
	;; [unrolled: 1-line block ×3, first 2 shown]
	v_add_f64 v[96:97], v[98:99], v[96:97]
	v_fma_f64 v[98:99], v[174:175], s[10:11], -v[176:177]
	v_add_f64 v[159:160], v[161:162], v[159:160]
	v_fma_f64 v[161:162], v[174:175], s[10:11], v[176:177]
	v_fma_f64 v[176:177], v[110:111], s[18:19], v[178:179]
	;; [unrolled: 1-line block ×3, first 2 shown]
	v_add_f64 v[98:99], v[80:81], v[98:99]
	v_add_f64 v[161:162], v[80:81], v[161:162]
	;; [unrolled: 1-line block ×3, first 2 shown]
	v_mul_f64 v[180:181], v[150:151], s[38:39]
	v_add_f64 v[161:162], v[176:177], v[161:162]
	v_fma_f64 v[182:183], v[116:117], s[8:9], v[180:181]
	v_fma_f64 v[176:177], v[116:117], s[8:9], -v[180:181]
	v_mul_f64 v[180:181], v[168:169], s[50:51]
	v_add_f64 v[96:97], v[182:183], v[96:97]
	v_mul_f64 v[182:183], v[118:119], s[38:39]
	v_add_f64 v[159:160], v[176:177], v[159:160]
	v_fma_f64 v[184:185], v[114:115], s[8:9], -v[182:183]
	v_fma_f64 v[176:177], v[114:115], s[8:9], v[182:183]
	v_mul_f64 v[182:183], v[168:169], s[52:53]
	v_add_f64 v[98:99], v[184:185], v[98:99]
	v_mul_f64 v[184:185], v[148:149], s[36:37]
	v_add_f64 v[161:162], v[176:177], v[161:162]
	v_fma_f64 v[186:187], v[112:113], s[2:3], v[184:185]
	v_fma_f64 v[176:177], v[112:113], s[2:3], -v[184:185]
	v_add_f64 v[96:97], v[186:187], v[96:97]
	v_mul_f64 v[186:187], v[146:147], s[36:37]
	v_add_f64 v[159:160], v[176:177], v[159:160]
	v_fma_f64 v[188:189], v[102:103], s[2:3], -v[186:187]
	v_fma_f64 v[176:177], v[102:103], s[2:3], v[186:187]
	v_add_f64 v[98:99], v[188:189], v[98:99]
	v_mul_f64 v[188:189], v[126:127], s[30:31]
	v_add_f64 v[161:162], v[176:177], v[161:162]
	v_fma_f64 v[190:191], v[106:107], s[22:23], v[188:189]
	v_fma_f64 v[176:177], v[106:107], s[22:23], -v[188:189]
	v_fma_f64 v[188:189], v[172:173], s[20:21], v[180:181]
	v_fma_f64 v[180:181], v[172:173], s[20:21], -v[180:181]
	v_add_f64 v[96:97], v[190:191], v[96:97]
	v_mul_f64 v[190:191], v[124:125], s[30:31]
	v_add_f64 v[159:160], v[176:177], v[159:160]
	v_fma_f64 v[192:193], v[100:101], s[22:23], -v[190:191]
	v_fma_f64 v[176:177], v[100:101], s[22:23], v[190:191]
	v_fma_f64 v[190:191], v[172:173], s[16:17], -v[182:183]
	v_fma_f64 v[182:183], v[172:173], s[16:17], v[182:183]
	v_add_f64 v[98:99], v[192:193], v[98:99]
	v_mul_f64 v[192:193], v[134:135], s[52:53]
	v_add_f64 v[161:162], v[176:177], v[161:162]
	v_fma_f64 v[194:195], v[128:129], s[16:17], v[192:193]
	v_fma_f64 v[176:177], v[128:129], s[16:17], -v[192:193]
	v_add_f64 v[96:97], v[194:195], v[96:97]
	v_mul_f64 v[194:195], v[132:133], s[52:53]
	v_add_f64 v[159:160], v[176:177], v[159:160]
	v_fma_f64 v[196:197], v[104:105], s[16:17], -v[194:195]
	v_fma_f64 v[176:177], v[104:105], s[16:17], v[194:195]
	v_mul_f64 v[194:195], v[170:171], s[44:45]
	v_add_f64 v[98:99], v[196:197], v[98:99]
	v_mul_f64 v[196:197], v[144:145], s[24:25]
	v_add_f64 v[161:162], v[176:177], v[161:162]
	v_fma_f64 v[198:199], v[122:123], s[0:1], v[196:197]
	v_fma_f64 v[176:177], v[122:123], s[0:1], -v[196:197]
	v_mul_f64 v[196:197], v[170:171], s[50:51]
	v_add_f64 v[96:97], v[198:199], v[96:97]
	v_mul_f64 v[198:199], v[130:131], s[24:25]
	v_add_f64 v[159:160], v[176:177], v[159:160]
	v_fma_f64 v[200:201], v[120:121], s[0:1], -v[198:199]
	v_fma_f64 v[176:177], v[120:121], s[0:1], v[198:199]
	v_mul_f64 v[198:199], v[170:171], s[52:53]
	v_add_f64 v[200:201], v[200:201], v[98:99]
	v_fma_f64 v[98:99], v[140:141], s[20:21], v[202:203]
	v_add_f64 v[176:177], v[176:177], v[161:162]
	v_fma_f64 v[161:162], v[140:141], s[20:21], -v[202:203]
	v_fma_f64 v[202:203], v[174:175], s[22:23], -v[194:195]
	v_fma_f64 v[194:195], v[174:175], s[22:23], v[194:195]
	v_fma_f64 v[212:213], v[174:175], s[16:17], v[198:199]
	v_fma_f64 v[198:199], v[174:175], s[16:17], -v[198:199]
	v_add_f64 v[2:3], v[98:99], v[96:97]
	v_fma_f64 v[96:97], v[136:137], s[20:21], -v[210:211]
	v_fma_f64 v[210:211], v[174:175], s[20:21], -v[196:197]
	v_fma_f64 v[196:197], v[174:175], s[20:21], v[196:197]
	v_add_f64 v[202:203], v[80:81], v[202:203]
	v_mul_f64 v[98:99], v[154:155], s[44:45]
	v_add_f64 v[198:199], v[80:81], v[198:199]
	v_add_f64 v[0:1], v[96:97], v[200:201]
	buffer_store_dword v0, off, s[60:63], 0 offset:212 ; 4-byte Folded Spill
	buffer_store_dword v1, off, s[60:63], 0 offset:216 ; 4-byte Folded Spill
	;; [unrolled: 1-line block ×4, first 2 shown]
	v_add_f64 v[2:3], v[161:162], v[159:160]
	v_add_f64 v[0:1], v[178:179], v[176:177]
	v_mul_f64 v[176:177], v[168:169], s[46:47]
	v_mul_f64 v[178:179], v[168:169], s[44:45]
	;; [unrolled: 1-line block ×3, first 2 shown]
	buffer_store_dword v0, off, s[60:63], 0 offset:228 ; 4-byte Folded Spill
	buffer_store_dword v1, off, s[60:63], 0 offset:232 ; 4-byte Folded Spill
	;; [unrolled: 1-line block ×4, first 2 shown]
	v_add_f64 v[0:1], v[80:81], v[210:211]
	v_fma_f64 v[184:185], v[172:173], s[18:19], v[176:177]
	v_fma_f64 v[176:177], v[172:173], s[18:19], -v[176:177]
	v_fma_f64 v[186:187], v[172:173], s[22:23], v[178:179]
	v_fma_f64 v[178:179], v[172:173], s[22:23], -v[178:179]
	v_fma_f64 v[192:193], v[172:173], s[8:9], -v[168:169]
	v_fma_f64 v[168:169], v[172:173], s[8:9], v[168:169]
	v_mul_f64 v[172:173], v[170:171], s[46:47]
	v_mul_f64 v[170:171], v[170:171], s[38:39]
	buffer_store_dword v0, off, s[60:63], 0 offset:268 ; 4-byte Folded Spill
	buffer_store_dword v1, off, s[60:63], 0 offset:272 ; 4-byte Folded Spill
	v_add_f64 v[0:1], v[82:83], v[182:183]
	buffer_store_dword v0, off, s[60:63], 0 offset:260 ; 4-byte Folded Spill
	buffer_store_dword v1, off, s[60:63], 0 offset:264 ; 4-byte Folded Spill
	v_fma_f64 v[200:201], v[174:175], s[18:19], -v[172:173]
	v_fma_f64 v[172:173], v[174:175], s[18:19], v[172:173]
	v_fma_f64 v[214:215], v[174:175], s[8:9], v[170:171]
	v_add_f64 v[0:1], v[82:83], v[168:169]
	v_fma_f64 v[170:171], v[174:175], s[8:9], -v[170:171]
	buffer_store_dword v0, off, s[60:63], 0 offset:252 ; 4-byte Folded Spill
	buffer_store_dword v1, off, s[60:63], 0 offset:256 ; 4-byte Folded Spill
	v_add_f64 v[218:219], v[80:81], v[172:173]
	v_add_f64 v[172:173], v[82:83], v[180:181]
	;; [unrolled: 1-line block ×5, first 2 shown]
	v_mul_f64 v[214:215], v[154:155], s[52:53]
	v_add_f64 v[216:217], v[82:83], v[176:177]
	v_add_f64 v[200:201], v[80:81], v[200:201]
	;; [unrolled: 1-line block ×10, first 2 shown]
	v_mov_b32_e32 v186, v205
	v_mov_b32_e32 v187, v206
	;; [unrolled: 1-line block ×4, first 2 shown]
	v_mul_f64 v[206:207], v[146:147], s[44:45]
	v_mul_f64 v[96:97], v[126:127], s[46:47]
	;; [unrolled: 1-line block ×4, first 2 shown]
	s_mov_b32 s47, 0x3fe0d888
	s_mov_b32 s46, s36
	v_mov_b32_e32 v160, v164
	v_fma_f64 v[80:81], v[108:109], s[16:17], -v[214:215]
	v_mul_f64 v[163:164], v[142:143], s[34:35]
	buffer_store_dword v0, off, s[60:63], 0 offset:244 ; 4-byte Folded Spill
	buffer_store_dword v1, off, s[60:63], 0 offset:248 ; 4-byte Folded Spill
	v_mul_f64 v[2:3], v[152:153], s[26:27]
	v_mul_f64 v[142:143], v[142:143], s[26:27]
	v_add_f64 v[80:81], v[80:81], v[190:191]
	v_mul_f64 v[190:191], v[152:153], s[52:53]
	v_fma_f64 v[82:83], v[110:111], s[16:17], v[190:191]
	v_add_f64 v[82:83], v[82:83], v[192:193]
	v_mul_f64 v[192:193], v[150:151], s[50:51]
	v_fma_f64 v[168:169], v[116:117], s[20:21], -v[192:193]
	v_add_f64 v[80:81], v[168:169], v[80:81]
	v_fma_f64 v[168:169], v[114:115], s[20:21], v[220:221]
	v_add_f64 v[82:83], v[168:169], v[82:83]
	v_fma_f64 v[168:169], v[112:113], s[22:23], -v[222:223]
	v_add_f64 v[80:81], v[168:169], v[80:81]
	v_fma_f64 v[168:169], v[102:103], s[22:23], v[206:207]
	v_add_f64 v[82:83], v[168:169], v[82:83]
	;; [unrolled: 4-line block ×6, first 2 shown]
	v_fma_f64 v[168:169], v[108:109], s[22:23], -v[98:99]
	v_add_f64 v[168:169], v[168:169], v[180:181]
	v_mul_f64 v[180:181], v[152:153], s[44:45]
	v_fma_f64 v[170:171], v[110:111], s[22:23], v[180:181]
	v_add_f64 v[170:171], v[170:171], v[196:197]
	v_mul_f64 v[196:197], v[150:151], s[26:27]
	v_fma_f64 v[244:245], v[116:117], s[10:11], -v[196:197]
	v_add_f64 v[168:169], v[244:245], v[168:169]
	v_mul_f64 v[244:245], v[118:119], s[26:27]
	v_fma_f64 v[246:247], v[114:115], s[10:11], v[244:245]
	v_add_f64 v[170:171], v[246:247], v[170:171]
	v_mul_f64 v[246:247], v[148:149], s[24:25]
	v_mul_f64 v[148:149], v[148:149], s[50:51]
	v_fma_f64 v[248:249], v[112:113], s[0:1], -v[246:247]
	v_add_f64 v[168:169], v[248:249], v[168:169]
	v_mul_f64 v[248:249], v[146:147], s[24:25]
	v_fma_f64 v[250:251], v[102:103], s[0:1], v[248:249]
	v_add_f64 v[170:171], v[250:251], v[170:171]
	v_mul_f64 v[250:251], v[126:127], s[46:47]
	v_fma_f64 v[252:253], v[106:107], s[2:3], -v[250:251]
	v_add_f64 v[168:169], v[252:253], v[168:169]
	v_mul_f64 v[252:253], v[124:125], s[46:47]
	v_fma_f64 v[254:255], v[100:101], s[2:3], v[252:253]
	v_add_f64 v[170:171], v[254:255], v[170:171]
	v_mul_f64 v[254:255], v[134:135], s[48:49]
	v_mul_f64 v[134:135], v[134:135], s[30:31]
	v_fma_f64 v[204:205], v[128:129], s[18:19], -v[254:255]
	v_add_f64 v[168:169], v[204:205], v[168:169]
	v_mul_f64 v[204:205], v[132:133], s[48:49]
	v_fma_f64 v[208:209], v[104:105], s[18:19], v[204:205]
	v_add_f64 v[170:171], v[208:209], v[170:171]
	v_mul_f64 v[208:209], v[144:145], s[42:43]
	s_mov_b32 s43, 0x3fc7851a
	s_mov_b32 s42, s24
	v_mul_f64 v[144:145], v[144:145], s[38:39]
	v_fma_f64 v[156:157], v[122:123], s[20:21], -v[208:209]
	v_add_f64 v[156:157], v[156:157], v[168:169]
	v_fma_f64 v[168:169], v[120:121], s[20:21], v[90:91]
	v_add_f64 v[168:169], v[168:169], v[170:171]
	v_fma_f64 v[170:171], v[140:141], s[8:9], -v[163:164]
	v_add_f64 v[170:171], v[170:171], v[156:157]
	v_mul_f64 v[156:157], v[138:139], s[34:35]
	v_fma_f64 v[212:213], v[136:137], s[8:9], v[156:157]
	v_add_f64 v[168:169], v[212:213], v[168:169]
	v_mul_f64 v[212:213], v[154:155], s[26:27]
	v_fma_f64 v[210:211], v[108:109], s[10:11], -v[212:213]
	v_add_f64 v[172:173], v[210:211], v[172:173]
	v_mul_f64 v[210:211], v[150:151], s[42:43]
	v_mul_f64 v[150:151], v[150:151], s[28:29]
	v_fma_f64 v[0:1], v[116:117], s[0:1], -v[210:211]
	v_add_f64 v[0:1], v[0:1], v[172:173]
	v_fma_f64 v[172:173], v[110:111], s[10:11], v[2:3]
	v_fma_f64 v[2:3], v[110:111], s[10:11], -v[2:3]
	v_add_f64 v[0:1], v[6:7], v[0:1]
	v_mul_f64 v[6:7], v[118:119], s[42:43]
	v_add_f64 v[172:173], v[172:173], v[174:175]
	v_add_f64 v[0:1], v[10:11], v[0:1]
	v_fma_f64 v[174:175], v[114:115], s[0:1], v[6:7]
	v_mul_f64 v[10:11], v[146:147], s[48:49]
	v_fma_f64 v[6:7], v[114:115], s[0:1], -v[6:7]
	v_add_f64 v[0:1], v[30:31], v[0:1]
	v_add_f64 v[172:173], v[174:175], v[172:173]
	v_fma_f64 v[174:175], v[102:103], s[18:19], v[10:11]
	v_mul_f64 v[30:31], v[124:125], s[28:29]
	v_add_f64 v[0:1], v[38:39], v[0:1]
	v_mul_f64 v[38:39], v[130:131], s[44:45]
	v_add_f64 v[172:173], v[174:175], v[172:173]
	v_fma_f64 v[174:175], v[100:101], s[16:17], v[30:31]
	v_mul_f64 v[130:131], v[130:131], s[38:39]
	v_add_f64 v[172:173], v[174:175], v[172:173]
	v_add_f64 v[174:175], v[42:43], v[0:1]
	v_mul_f64 v[0:1], v[138:139], s[36:37]
	v_add_f64 v[34:35], v[34:35], v[172:173]
	v_fma_f64 v[172:173], v[120:121], s[22:23], v[38:39]
	v_fma_f64 v[42:43], v[136:137], s[2:3], v[0:1]
	v_fma_f64 v[0:1], v[136:137], s[2:3], -v[0:1]
	v_add_f64 v[34:35], v[172:173], v[34:35]
	v_add_f64 v[172:173], v[42:43], v[34:35]
	v_mul_f64 v[34:35], v[154:155], s[24:25]
	v_fma_f64 v[42:43], v[108:109], s[0:1], -v[34:35]
	v_fma_f64 v[34:35], v[108:109], s[0:1], v[34:35]
	v_add_f64 v[42:43], v[42:43], v[176:177]
	v_add_f64 v[34:35], v[34:35], v[161:162]
	;; [unrolled: 1-line block ×3, first 2 shown]
	v_mul_f64 v[46:47], v[152:153], s[24:25]
	v_mul_f64 v[152:153], v[152:153], s[46:47]
	v_add_f64 v[34:35], v[44:45], v[34:35]
	v_add_f64 v[42:43], v[50:51], v[42:43]
	v_fma_f64 v[176:177], v[110:111], s[0:1], v[46:47]
	v_mul_f64 v[50:51], v[118:119], s[48:49]
	v_mul_f64 v[118:119], v[118:119], s[28:29]
	v_fma_f64 v[46:47], v[110:111], s[0:1], -v[46:47]
	v_add_f64 v[42:43], v[54:55], v[42:43]
	v_add_f64 v[176:177], v[176:177], v[178:179]
	v_fma_f64 v[178:179], v[114:115], s[18:19], v[50:51]
	v_mul_f64 v[54:55], v[146:147], s[34:35]
	v_mul_f64 v[146:147], v[146:147], s[50:51]
	v_add_f64 v[46:47], v[46:47], v[202:203]
	v_fma_f64 v[44:45], v[114:115], s[18:19], -v[50:51]
	v_add_f64 v[42:43], v[58:59], v[42:43]
	v_mul_f64 v[58:59], v[124:125], s[50:51]
	v_add_f64 v[176:177], v[178:179], v[176:177]
	v_fma_f64 v[178:179], v[102:103], s[8:9], v[54:55]
	v_add_f64 v[44:45], v[44:45], v[46:47]
	v_fma_f64 v[46:47], v[112:113], s[8:9], v[48:49]
	v_add_f64 v[42:43], v[62:63], v[42:43]
	v_mul_f64 v[62:63], v[132:133], s[36:37]
	v_mul_f64 v[132:133], v[132:133], s[30:31]
	v_add_f64 v[176:177], v[178:179], v[176:177]
	v_fma_f64 v[178:179], v[100:101], s[20:21], v[58:59]
	v_add_f64 v[34:35], v[46:47], v[34:35]
	v_fma_f64 v[46:47], v[102:103], s[8:9], -v[54:55]
	v_add_f64 v[176:177], v[178:179], v[176:177]
	v_fma_f64 v[178:179], v[104:105], s[2:3], v[62:63]
	v_add_f64 v[44:45], v[46:47], v[44:45]
	v_fma_f64 v[46:47], v[106:107], s[20:21], v[52:53]
	v_add_f64 v[176:177], v[178:179], v[176:177]
	v_add_f64 v[178:179], v[70:71], v[42:43]
	v_mul_f64 v[42:43], v[138:139], s[28:29]
	v_mul_f64 v[138:139], v[138:139], s[26:27]
	v_add_f64 v[34:35], v[46:47], v[34:35]
	v_fma_f64 v[46:47], v[100:101], s[20:21], -v[58:59]
	v_add_f64 v[66:67], v[66:67], v[176:177]
	v_fma_f64 v[70:71], v[136:137], s[16:17], v[42:43]
	v_fma_f64 v[42:43], v[136:137], s[16:17], -v[42:43]
	v_add_f64 v[44:45], v[46:47], v[44:45]
	v_fma_f64 v[46:47], v[128:129], s[2:3], v[56:57]
	v_add_f64 v[176:177], v[70:71], v[66:67]
	v_mul_f64 v[66:67], v[154:155], s[46:47]
	v_fma_f64 v[154:155], v[116:117], s[16:17], -v[150:151]
	v_add_f64 v[34:35], v[46:47], v[34:35]
	v_fma_f64 v[46:47], v[104:105], s[2:3], -v[62:63]
	v_fma_f64 v[70:71], v[108:109], s[2:3], -v[66:67]
	v_fma_f64 v[66:67], v[108:109], s[2:3], v[66:67]
	v_add_f64 v[44:45], v[46:47], v[44:45]
	v_fma_f64 v[46:47], v[122:123], s[10:11], v[60:61]
	v_add_f64 v[70:71], v[70:71], v[216:217]
	v_fma_f64 v[216:217], v[122:123], s[8:9], -v[144:145]
	v_add_f64 v[66:67], v[66:67], v[184:185]
	v_add_f64 v[34:35], v[46:47], v[34:35]
	v_fma_f64 v[46:47], v[120:121], s[10:11], -v[64:65]
	v_add_f64 v[70:71], v[154:155], v[70:71]
	v_fma_f64 v[154:155], v[112:113], s[20:21], -v[148:149]
	v_fma_f64 v[148:149], v[112:113], s[20:21], v[148:149]
	v_add_f64 v[44:45], v[46:47], v[44:45]
	v_fma_f64 v[46:47], v[140:141], s[16:17], v[68:69]
	v_add_f64 v[70:71], v[154:155], v[70:71]
	v_mul_f64 v[154:155], v[126:127], s[24:25]
	v_fma_f64 v[126:127], v[106:107], s[0:1], -v[154:155]
	v_add_f64 v[70:71], v[126:127], v[70:71]
	v_fma_f64 v[126:127], v[128:129], s[22:23], -v[134:135]
	v_add_f64 v[70:71], v[126:127], v[70:71]
	v_fma_f64 v[126:127], v[110:111], s[2:3], v[152:153]
	v_add_f64 v[70:71], v[216:217], v[70:71]
	v_add_f64 v[126:127], v[126:127], v[218:219]
	v_fma_f64 v[216:217], v[114:115], s[16:17], v[118:119]
	v_fma_f64 v[118:119], v[114:115], s[16:17], -v[118:119]
	v_add_f64 v[126:127], v[216:217], v[126:127]
	v_fma_f64 v[216:217], v[102:103], s[20:21], v[146:147]
	v_add_f64 v[126:127], v[216:217], v[126:127]
	v_mul_f64 v[216:217], v[124:125], s[24:25]
	v_fma_f64 v[124:125], v[100:101], s[0:1], v[216:217]
	v_add_f64 v[124:125], v[124:125], v[126:127]
	v_fma_f64 v[126:127], v[104:105], s[22:23], v[132:133]
	v_add_f64 v[124:125], v[126:127], v[124:125]
	;; [unrolled: 2-line block ×3, first 2 shown]
	v_fma_f64 v[126:127], v[140:141], s[10:11], -v[142:143]
	v_add_f64 v[126:127], v[126:127], v[70:71]
	v_fma_f64 v[70:71], v[136:137], s[10:11], v[138:139]
	v_add_f64 v[124:125], v[70:71], v[124:125]
	v_fma_f64 v[70:71], v[116:117], s[16:17], v[150:151]
	v_add_f64 v[66:67], v[70:71], v[66:67]
	v_fma_f64 v[70:71], v[110:111], s[2:3], -v[152:153]
	v_add_f64 v[66:67], v[148:149], v[66:67]
	v_add_f64 v[70:71], v[70:71], v[200:201]
	;; [unrolled: 1-line block ×3, first 2 shown]
	v_fma_f64 v[118:119], v[106:107], s[0:1], v[154:155]
	v_add_f64 v[66:67], v[118:119], v[66:67]
	v_fma_f64 v[118:119], v[102:103], s[20:21], -v[146:147]
	v_add_f64 v[70:71], v[118:119], v[70:71]
	v_fma_f64 v[118:119], v[128:129], s[22:23], v[134:135]
	v_add_f64 v[66:67], v[118:119], v[66:67]
	v_fma_f64 v[118:119], v[100:101], s[0:1], -v[216:217]
	v_add_f64 v[70:71], v[118:119], v[70:71]
	v_fma_f64 v[118:119], v[122:123], s[8:9], v[144:145]
	v_add_f64 v[144:145], v[46:47], v[34:35]
	v_fma_f64 v[34:35], v[108:109], s[10:11], v[212:213]
	v_add_f64 v[66:67], v[118:119], v[66:67]
	v_fma_f64 v[118:119], v[104:105], s[22:23], -v[132:133]
	v_add_f64 v[34:35], v[34:35], v[194:195]
	v_add_f64 v[70:71], v[118:119], v[70:71]
	v_fma_f64 v[118:119], v[120:121], s[8:9], -v[130:131]
	v_fma_f64 v[130:131], v[136:137], s[10:11], -v[138:139]
	v_add_f64 v[70:71], v[118:119], v[70:71]
	v_fma_f64 v[118:119], v[140:141], s[10:11], v[142:143]
	v_add_f64 v[142:143], v[42:43], v[44:45]
	s_clause 0x1
	buffer_load_dword v42, off, s[60:63], 0 offset:268
	buffer_load_dword v43, off, s[60:63], 0 offset:272
	v_add_f64 v[130:131], v[130:131], v[70:71]
	v_add_f64 v[132:133], v[118:119], v[66:67]
	s_waitcnt vmcnt(0)
	v_add_f64 v[2:3], v[2:3], v[42:43]
	v_fma_f64 v[42:43], v[116:117], s[0:1], v[210:211]
	v_add_f64 v[2:3], v[6:7], v[2:3]
	v_add_f64 v[34:35], v[42:43], v[34:35]
	v_fma_f64 v[6:7], v[102:103], s[18:19], -v[10:11]
	v_mov_b32_e32 v10, v167
	v_add_f64 v[4:5], v[4:5], v[34:35]
	v_add_f64 v[2:3], v[6:7], v[2:3]
	v_fma_f64 v[6:7], v[106:107], s[16:17], v[8:9]
	v_add_f64 v[4:5], v[6:7], v[4:5]
	v_fma_f64 v[6:7], v[100:101], s[16:17], -v[30:31]
	v_add_f64 v[2:3], v[6:7], v[2:3]
	v_fma_f64 v[6:7], v[128:129], s[8:9], v[28:29]
	v_add_f64 v[4:5], v[6:7], v[4:5]
	v_fma_f64 v[6:7], v[104:105], s[8:9], -v[32:33]
	;; [unrolled: 4-line block ×3, first 2 shown]
	v_add_f64 v[2:3], v[6:7], v[2:3]
	v_fma_f64 v[6:7], v[140:141], s[2:3], v[40:41]
	v_add_f64 v[146:147], v[0:1], v[2:3]
	s_clause 0x1
	buffer_load_dword v2, off, s[60:63], 0 offset:260
	buffer_load_dword v3, off, s[60:63], 0 offset:264
	v_fma_f64 v[0:1], v[108:109], s[22:23], v[98:99]
	v_add_f64 v[148:149], v[6:7], v[4:5]
	v_fma_f64 v[4:5], v[116:117], s[10:11], v[196:197]
	v_fma_f64 v[6:7], v[136:137], s[8:9], -v[156:157]
	buffer_load_dword v167, off, s[60:63], 0 offset:8 ; 4-byte Folded Reload
	s_waitcnt vmcnt(1)
	v_add_f64 v[0:1], v[0:1], v[2:3]
	v_fma_f64 v[2:3], v[110:111], s[22:23], -v[180:181]
	v_add_f64 v[0:1], v[4:5], v[0:1]
	v_add_f64 v[2:3], v[2:3], v[198:199]
	v_fma_f64 v[4:5], v[114:115], s[10:11], -v[244:245]
	v_add_f64 v[2:3], v[4:5], v[2:3]
	v_fma_f64 v[4:5], v[112:113], s[0:1], v[246:247]
	v_mov_b32_e32 v247, v15
	v_mov_b32_e32 v246, v14
	v_mov_b32_e32 v245, v13
	v_mov_b32_e32 v244, v12
	v_add_f64 v[0:1], v[4:5], v[0:1]
	v_fma_f64 v[4:5], v[102:103], s[0:1], -v[248:249]
	v_add_f64 v[2:3], v[4:5], v[2:3]
	v_fma_f64 v[4:5], v[106:107], s[2:3], v[250:251]
	v_mov_b32_e32 v251, v75
	v_mov_b32_e32 v250, v74
	v_mov_b32_e32 v249, v73
	v_mov_b32_e32 v248, v72
	v_add_f64 v[0:1], v[4:5], v[0:1]
	v_fma_f64 v[4:5], v[100:101], s[2:3], -v[252:253]
	v_add_f64 v[2:3], v[4:5], v[2:3]
	v_fma_f64 v[4:5], v[128:129], s[18:19], v[254:255]
	v_mov_b32_e32 v255, v19
	v_mov_b32_e32 v254, v18
	v_mov_b32_e32 v253, v17
	v_mov_b32_e32 v252, v16
	v_add_f64 v[0:1], v[4:5], v[0:1]
	v_fma_f64 v[4:5], v[104:105], s[18:19], -v[204:205]
	v_add_f64 v[2:3], v[4:5], v[2:3]
	v_fma_f64 v[4:5], v[122:123], s[20:21], v[208:209]
	v_add_f64 v[0:1], v[4:5], v[0:1]
	v_fma_f64 v[4:5], v[120:121], s[20:21], -v[90:91]
	v_add_f64 v[2:3], v[4:5], v[2:3]
	v_fma_f64 v[4:5], v[140:141], s[8:9], v[163:164]
	v_mov_b32_e32 v164, v160
	v_add_f64 v[150:151], v[6:7], v[2:3]
	s_clause 0x3
	buffer_load_dword v6, off, s[60:63], 0 offset:252
	buffer_load_dword v7, off, s[60:63], 0 offset:256
	;; [unrolled: 1-line block ×4, first 2 shown]
	v_add_f64 v[152:153], v[4:5], v[0:1]
	v_fma_f64 v[0:1], v[108:109], s[16:17], v[214:215]
	v_fma_f64 v[2:3], v[110:111], s[16:17], -v[190:191]
	v_fma_f64 v[4:5], v[116:117], s[20:21], v[192:193]
	s_waitcnt vmcnt(2)
	v_add_f64 v[0:1], v[0:1], v[6:7]
	v_fma_f64 v[6:7], v[114:115], s[20:21], -v[220:221]
	s_waitcnt vmcnt(0)
	v_add_f64 v[2:3], v[2:3], v[8:9]
	v_fma_f64 v[8:9], v[112:113], s[22:23], v[222:223]
	v_add_f64 v[0:1], v[4:5], v[0:1]
	v_fma_f64 v[4:5], v[102:103], s[22:23], -v[206:207]
	v_add_f64 v[2:3], v[6:7], v[2:3]
	v_fma_f64 v[6:7], v[106:107], s[18:19], v[96:97]
	v_mov_b32_e32 v208, v189
	v_mov_b32_e32 v207, v188
	;; [unrolled: 1-line block ×4, first 2 shown]
	v_add_f64 v[0:1], v[8:9], v[0:1]
	v_fma_f64 v[8:9], v[100:101], s[18:19], -v[88:89]
	v_add_f64 v[2:3], v[4:5], v[2:3]
	v_fma_f64 v[4:5], v[128:129], s[10:11], v[84:85]
	v_add_f64 v[0:1], v[6:7], v[0:1]
	v_fma_f64 v[6:7], v[104:105], s[10:11], -v[86:87]
	v_add_f64 v[2:3], v[8:9], v[2:3]
	v_fma_f64 v[8:9], v[122:123], s[2:3], v[92:93]
	;; [unrolled: 4-line block ×3, first 2 shown]
	s_clause 0x1
	buffer_load_dword v141, off, s[60:63], 0 offset:124
	buffer_load_dword v140, off, s[60:63], 0 offset:120
	v_add_f64 v[0:1], v[8:9], v[0:1]
	v_fma_f64 v[8:9], v[136:137], s[0:1], -v[158:159]
	v_add_f64 v[2:3], v[4:5], v[2:3]
	v_mul_lo_u16 v4, v167, 17
	v_mov_b32_e32 v167, v10
	v_and_b32_e32 v4, 0xffff, v4
	v_add_f64 v[102:103], v[6:7], v[0:1]
	buffer_load_dword v0, off, s[60:63], 0 offset:20 ; 4-byte Folded Reload
	v_add_f64 v[100:101], v[8:9], v[2:3]
	s_waitcnt vmcnt(0)
	v_lshl_add_u32 v0, v4, 4, v0
	s_clause 0x3
	buffer_load_dword v1, off, s[60:63], 0 offset:132
	buffer_load_dword v2, off, s[60:63], 0 offset:136
	;; [unrolled: 1-line block ×4, first 2 shown]
	s_waitcnt vmcnt(0)
	ds_write_b128 v0, v[1:4]
	ds_write_b128 v0, v[80:83] offset:16
	ds_write_b128 v0, v[168:171] offset:32
	;; [unrolled: 1-line block ×5, first 2 shown]
	s_clause 0x3
	buffer_load_dword v1, off, s[60:63], 0 offset:228
	buffer_load_dword v2, off, s[60:63], 0 offset:232
	buffer_load_dword v3, off, s[60:63], 0 offset:236
	buffer_load_dword v4, off, s[60:63], 0 offset:240
	s_waitcnt vmcnt(0)
	ds_write_b128 v0, v[1:4] offset:96
	s_clause 0x3
	buffer_load_dword v1, off, s[60:63], 0 offset:196
	buffer_load_dword v2, off, s[60:63], 0 offset:200
	buffer_load_dword v3, off, s[60:63], 0 offset:204
	buffer_load_dword v4, off, s[60:63], 0 offset:208
	s_waitcnt vmcnt(0)
	ds_write_b128 v0, v[1:4] offset:112
	;; [unrolled: 7-line block ×6, first 2 shown]
	ds_write_b128 v0, v[130:133] offset:192
	ds_write_b128 v0, v[142:145] offset:208
	buffer_load_dword v142, off, s[60:63], 0 offset:128 ; 4-byte Folded Reload
	ds_write_b128 v0, v[146:149] offset:224
	ds_write_b128 v0, v[150:153] offset:240
	;; [unrolled: 1-line block ×3, first 2 shown]
.LBB0_13:
	s_or_b32 exec_lo, exec_lo, s33
	s_waitcnt vmcnt(0) lgkmcnt(0)
	s_waitcnt_vscnt null, 0x0
	s_barrier
	buffer_gl0_inv
	ds_read_b128 v[0:3], v165 offset:1632
	ds_read_b128 v[4:7], v165 offset:2448
	;; [unrolled: 1-line block ×4, first 2 shown]
	ds_read_b128 v[88:91], v165
	ds_read_b128 v[92:95], v165 offset:272
	ds_read_b128 v[96:99], v165 offset:1904
	;; [unrolled: 1-line block ×10, first 2 shown]
	s_clause 0x3
	buffer_load_dword v66, off, s[60:63], 0 offset:56
	buffer_load_dword v67, off, s[60:63], 0 offset:60
	;; [unrolled: 1-line block ×4, first 2 shown]
	s_mov_b32 s8, 0x134454ff
	s_mov_b32 s9, 0xbfee6f0e
	;; [unrolled: 1-line block ×7, first 2 shown]
	s_waitcnt lgkmcnt(14)
	v_mul_f64 v[8:9], v[22:23], v[2:3]
	s_waitcnt lgkmcnt(13)
	v_mul_f64 v[10:11], v[230:231], v[6:7]
	;; [unrolled: 2-line block ×4, first 2 shown]
	v_mul_f64 v[32:33], v[22:23], v[0:1]
	v_mul_f64 v[34:35], v[230:231], v[4:5]
	;; [unrolled: 1-line block ×4, first 2 shown]
	s_waitcnt lgkmcnt(7)
	v_mul_f64 v[14:15], v[226:227], v[100:101]
	s_waitcnt lgkmcnt(3)
	v_mul_f64 v[42:43], v[238:239], v[116:117]
	v_mul_f64 v[40:41], v[26:27], v[114:115]
	;; [unrolled: 1-line block ×5, first 2 shown]
	s_waitcnt lgkmcnt(1)
	v_mul_f64 v[48:49], v[250:251], v[126:127]
	v_mul_f64 v[50:51], v[250:251], v[124:125]
	;; [unrolled: 1-line block ×3, first 2 shown]
	s_mov_b32 s10, s2
	s_mov_b32 s0, 0x372fe950
	;; [unrolled: 1-line block ×3, first 2 shown]
	s_waitcnt vmcnt(0) lgkmcnt(0)
	s_barrier
	v_fma_f64 v[0:1], v[20:21], v[0:1], v[8:9]
	v_fma_f64 v[4:5], v[228:229], v[4:5], v[10:11]
	;; [unrolled: 1-line block ×4, first 2 shown]
	v_fma_f64 v[2:3], v[20:21], v[2:3], -v[32:33]
	v_fma_f64 v[6:7], v[228:229], v[6:7], -v[34:35]
	v_mul_f64 v[28:29], v[22:23], v[98:99]
	v_mul_f64 v[22:23], v[22:23], v[96:97]
	v_mul_f64 v[30:31], v[230:231], v[122:123]
	v_mul_f64 v[32:33], v[226:227], v[102:103]
	v_mul_f64 v[34:35], v[238:239], v[118:119]
	v_fma_f64 v[36:37], v[24:25], v[82:83], -v[36:37]
	v_fma_f64 v[38:39], v[224:225], v[86:87], -v[38:39]
	v_fma_f64 v[40:41], v[24:25], v[112:113], v[40:41]
	v_fma_f64 v[24:25], v[24:25], v[114:115], -v[26:27]
	buffer_gl0_inv
	v_fma_f64 v[18:19], v[228:229], v[122:123], -v[18:19]
	v_add_f64 v[54:55], v[0:1], v[4:5]
	v_add_f64 v[12:13], v[88:89], v[8:9]
	;; [unrolled: 1-line block ×3, first 2 shown]
	v_add_f64 v[64:65], v[8:9], -v[10:11]
	v_add_f64 v[60:61], v[2:3], v[6:7]
	v_fma_f64 v[26:27], v[20:21], v[96:97], v[28:29]
	v_fma_f64 v[20:21], v[20:21], v[98:99], -v[22:23]
	v_fma_f64 v[22:23], v[228:229], v[120:121], v[30:31]
	v_fma_f64 v[28:29], v[224:225], v[100:101], v[32:33]
	v_fma_f64 v[30:31], v[224:225], v[102:103], -v[14:15]
	v_fma_f64 v[14:15], v[236:237], v[116:117], v[34:35]
	v_fma_f64 v[32:33], v[236:237], v[118:119], -v[42:43]
	;; [unrolled: 2-line block ×4, first 2 shown]
	v_add_f64 v[16:17], v[36:37], -v[38:39]
	v_add_f64 v[48:49], v[90:91], v[36:37]
	v_add_f64 v[50:51], v[36:37], v[38:39]
	v_add_f64 v[62:63], v[2:3], -v[6:7]
	v_add_f64 v[80:81], v[4:5], -v[10:11]
	;; [unrolled: 1-line block ×3, first 2 shown]
	v_fma_f64 v[54:55], v[54:55], -0.5, v[88:89]
	v_add_f64 v[84:85], v[36:37], -v[2:3]
	v_fma_f64 v[58:59], v[58:59], -0.5, v[88:89]
	v_add_f64 v[86:87], v[38:39], -v[6:7]
	v_fma_f64 v[60:61], v[60:61], -0.5, v[90:91]
	v_add_f64 v[36:37], v[2:3], -v[36:37]
	v_add_f64 v[98:99], v[92:93], v[40:41]
	v_add_f64 v[70:71], v[26:27], v[22:23]
	;; [unrolled: 1-line block ×3, first 2 shown]
	v_add_f64 v[100:101], v[24:25], -v[30:31]
	v_add_f64 v[102:103], v[20:21], -v[18:19]
	;; [unrolled: 1-line block ×3, first 2 shown]
	v_add_f64 v[118:119], v[20:21], v[18:19]
	v_add_f64 v[116:117], v[94:95], v[24:25]
	v_add_f64 v[108:109], v[40:41], -v[26:27]
	v_add_f64 v[112:113], v[26:27], -v[40:41]
	;; [unrolled: 1-line block ×3, first 2 shown]
	v_add_f64 v[2:3], v[48:49], v[2:3]
	v_add_f64 v[110:111], v[28:29], -v[22:23]
	v_add_f64 v[114:115], v[22:23], -v[28:29]
	;; [unrolled: 1-line block ×3, first 2 shown]
	v_fma_f64 v[48:49], v[16:17], s[8:9], v[54:55]
	v_add_f64 v[84:85], v[84:85], v[86:87]
	v_add_f64 v[86:87], v[34:35], v[44:45]
	v_fma_f64 v[70:71], v[70:71], -0.5, v[92:93]
	v_add_f64 v[36:37], v[36:37], v[96:97]
	v_fma_f64 v[96:97], v[118:119], -0.5, v[94:95]
	v_add_f64 v[2:3], v[2:3], v[6:7]
	v_fma_f64 v[6:7], v[62:63], s[2:3], v[48:49]
	v_add_f64 v[2:3], v[2:3], v[38:39]
	v_mul_f64 v[52:53], v[68:69], v[130:131]
	v_mul_f64 v[56:57], v[68:69], v[128:129]
	v_add_f64 v[68:69], v[10:11], -v[4:5]
	v_fma_f64 v[52:53], v[66:67], v[128:129], v[52:53]
	v_fma_f64 v[56:57], v[66:67], v[130:131], -v[56:57]
	v_add_f64 v[66:67], v[8:9], -v[0:1]
	v_add_f64 v[8:9], v[0:1], -v[8:9]
	v_add_f64 v[0:1], v[12:13], v[0:1]
	v_fma_f64 v[12:13], v[50:51], -0.5, v[90:91]
	v_fma_f64 v[50:51], v[16:17], s[16:17], v[54:55]
	v_fma_f64 v[54:55], v[62:63], s[16:17], v[58:59]
	;; [unrolled: 1-line block ×5, first 2 shown]
	v_add_f64 v[122:123], v[56:57], -v[46:47]
	v_add_f64 v[66:67], v[66:67], v[68:69]
	v_fma_f64 v[68:69], v[88:89], -0.5, v[92:93]
	v_add_f64 v[80:81], v[8:9], v[80:81]
	v_add_f64 v[0:1], v[0:1], v[4:5]
	v_fma_f64 v[4:5], v[82:83], s[8:9], v[12:13]
	v_fma_f64 v[8:9], v[62:63], s[10:11], v[50:51]
	v_fma_f64 v[48:49], v[16:17], s[2:3], v[54:55]
	v_fma_f64 v[50:51], v[82:83], s[10:11], v[90:91]
	v_fma_f64 v[54:55], v[82:83], s[2:3], v[60:61]
	v_add_f64 v[60:61], v[98:99], v[26:27]
	v_add_f64 v[62:63], v[24:25], v[30:31]
	v_fma_f64 v[16:17], v[16:17], s[10:11], v[58:59]
	v_fma_f64 v[58:59], v[82:83], s[16:17], v[12:13]
	v_fma_f64 v[82:83], v[100:101], s[8:9], v[70:71]
	v_add_f64 v[88:89], v[14:15], v[52:53]
	v_add_f64 v[90:91], v[42:43], v[46:47]
	;; [unrolled: 1-line block ×3, first 2 shown]
	v_fma_f64 v[70:71], v[100:101], s[16:17], v[70:71]
	v_fma_f64 v[98:99], v[102:103], s[16:17], v[68:69]
	;; [unrolled: 1-line block ×3, first 2 shown]
	v_add_f64 v[0:1], v[0:1], v[10:11]
	v_fma_f64 v[38:39], v[64:65], s[10:11], v[4:5]
	v_fma_f64 v[4:5], v[66:67], s[0:1], v[6:7]
	;; [unrolled: 1-line block ×5, first 2 shown]
	v_add_f64 v[50:51], v[60:61], v[22:23]
	v_add_f64 v[22:23], v[26:27], -v[22:23]
	v_fma_f64 v[26:27], v[62:63], -0.5, v[94:95]
	v_add_f64 v[60:61], v[104:105], v[14:15]
	v_fma_f64 v[62:63], v[86:87], -0.5, v[104:105]
	v_add_f64 v[86:87], v[106:107], v[32:33]
	v_fma_f64 v[48:49], v[64:65], s[2:3], v[58:59]
	v_fma_f64 v[54:55], v[102:103], s[2:3], v[82:83]
	v_add_f64 v[64:65], v[32:33], -v[56:57]
	v_fma_f64 v[82:83], v[88:89], -0.5, v[104:105]
	v_fma_f64 v[88:89], v[90:91], -0.5, v[106:107]
	v_add_f64 v[90:91], v[14:15], -v[52:53]
	v_fma_f64 v[8:9], v[66:67], s[0:1], v[8:9]
	v_fma_f64 v[16:17], v[80:81], s[0:1], v[16:17]
	;; [unrolled: 1-line block ×4, first 2 shown]
	v_add_f64 v[80:81], v[42:43], -v[46:47]
	v_add_f64 v[98:99], v[34:35], -v[44:45]
	v_fma_f64 v[92:93], v[92:93], -0.5, v[106:107]
	v_add_f64 v[94:95], v[116:117], v[20:21]
	v_fma_f64 v[102:103], v[40:41], s[16:17], v[96:97]
	v_add_f64 v[104:105], v[24:25], -v[20:21]
	v_add_f64 v[106:107], v[30:31], -v[18:19]
	v_add_f64 v[58:59], v[108:109], v[110:111]
	v_fma_f64 v[108:109], v[22:23], s[8:9], v[26:27]
	v_add_f64 v[20:21], v[20:21], -v[24:25]
	v_add_f64 v[24:25], v[18:19], -v[30:31]
	v_fma_f64 v[26:27], v[22:23], s[16:17], v[26:27]
	v_fma_f64 v[96:97], v[40:41], s[8:9], v[96:97]
	v_add_f64 v[60:61], v[60:61], v[34:35]
	v_add_f64 v[86:87], v[86:87], v[42:43]
	;; [unrolled: 1-line block ×3, first 2 shown]
	v_fma_f64 v[110:111], v[64:65], s[8:9], v[62:63]
	v_add_f64 v[112:113], v[14:15], -v[34:35]
	v_add_f64 v[114:115], v[52:53], -v[44:45]
	v_fma_f64 v[118:119], v[90:91], s[16:17], v[88:89]
	v_add_f64 v[14:15], v[34:35], -v[14:15]
	v_add_f64 v[34:35], v[44:45], -v[52:53]
	v_fma_f64 v[116:117], v[80:81], s[16:17], v[82:83]
	v_add_f64 v[32:33], v[42:43], -v[32:33]
	v_fma_f64 v[124:125], v[98:99], s[8:9], v[92:93]
	;; [unrolled: 2-line block ×3, first 2 shown]
	v_fma_f64 v[92:93], v[98:99], s[16:17], v[92:93]
	v_fma_f64 v[62:63], v[64:65], s[16:17], v[62:63]
	;; [unrolled: 1-line block ×3, first 2 shown]
	v_add_f64 v[94:95], v[94:95], v[18:19]
	v_fma_f64 v[68:69], v[100:101], s[10:11], v[68:69]
	v_fma_f64 v[100:101], v[22:23], s[10:11], v[102:103]
	v_add_f64 v[102:103], v[104:105], v[106:107]
	v_fma_f64 v[104:105], v[40:41], s[10:11], v[108:109]
	v_add_f64 v[106:107], v[20:21], v[24:25]
	v_fma_f64 v[40:41], v[40:41], s[2:3], v[26:27]
	v_fma_f64 v[96:97], v[22:23], s[2:3], v[96:97]
	v_add_f64 v[44:45], v[60:61], v[44:45]
	v_add_f64 v[46:47], v[86:87], v[46:47]
	v_fma_f64 v[60:61], v[80:81], s[2:3], v[110:111]
	v_add_f64 v[108:109], v[112:113], v[114:115]
	v_fma_f64 v[86:87], v[98:99], s[10:11], v[118:119]
	;; [unrolled: 2-line block ×5, first 2 shown]
	v_fma_f64 v[90:91], v[90:91], s[2:3], v[92:93]
	v_fma_f64 v[62:63], v[80:81], s[10:11], v[62:63]
	;; [unrolled: 1-line block ×5, first 2 shown]
	v_add_f64 v[20:21], v[50:51], v[28:29]
	v_add_f64 v[22:23], v[94:95], v[30:31]
	v_fma_f64 v[24:25], v[58:59], s[0:1], v[54:55]
	v_fma_f64 v[26:27], v[102:103], s[0:1], v[100:101]
	;; [unrolled: 1-line block ×8, first 2 shown]
	v_add_f64 v[80:81], v[44:45], v[52:53]
	v_add_f64 v[82:83], v[46:47], v[56:57]
	v_fma_f64 v[84:85], v[108:109], s[0:1], v[60:61]
	v_fma_f64 v[86:87], v[114:115], s[0:1], v[86:87]
	;; [unrolled: 1-line block ×8, first 2 shown]
	ds_write_b128 v165, v[0:3]
	ds_write_b128 v165, v[4:7] offset:272
	ds_write_b128 v165, v[12:15] offset:544
	;; [unrolled: 1-line block ×14, first 2 shown]
	s_waitcnt lgkmcnt(0)
	s_barrier
	buffer_gl0_inv
	ds_read_b128 v[0:3], v165 offset:1360
	ds_read_b128 v[4:7], v165 offset:2720
	;; [unrolled: 1-line block ×9, first 2 shown]
	s_mov_b32 s0, 0xe8584caa
	s_mov_b32 s1, 0xbfebb67a
	;; [unrolled: 1-line block ×4, first 2 shown]
	s_waitcnt lgkmcnt(8)
	v_mul_f64 v[36:37], v[207:208], v[2:3]
	s_waitcnt lgkmcnt(7)
	v_mul_f64 v[38:39], v[78:79], v[6:7]
	v_mul_f64 v[40:41], v[207:208], v[0:1]
	;; [unrolled: 1-line block ×3, first 2 shown]
	s_waitcnt lgkmcnt(4)
	v_mul_f64 v[52:53], v[246:247], v[18:19]
	v_mul_f64 v[54:55], v[242:243], v[10:11]
	v_mul_f64 v[56:57], v[246:247], v[16:17]
	v_mul_f64 v[58:59], v[242:243], v[8:9]
	s_waitcnt lgkmcnt(2)
	v_mul_f64 v[64:65], v[254:255], v[26:27]
	v_mul_f64 v[66:67], v[254:255], v[24:25]
	v_fma_f64 v[44:45], v[205:206], v[0:1], v[36:37]
	v_fma_f64 v[50:51], v[76:77], v[4:5], v[38:39]
	ds_read_b128 v[36:39], v165 offset:2448
	v_fma_f64 v[40:41], v[205:206], v[2:3], -v[40:41]
	ds_read_b128 v[0:3], v165 offset:3808
	s_clause 0x3
	buffer_load_dword v72, off, s[60:63], 0 offset:24
	buffer_load_dword v73, off, s[60:63], 0 offset:28
	;; [unrolled: 1-line block ×4, first 2 shown]
	v_fma_f64 v[42:43], v[76:77], v[6:7], -v[42:43]
	ds_read_b128 v[4:7], v165
	s_clause 0xb
	buffer_load_dword v76, off, s[60:63], 0 offset:104
	buffer_load_dword v77, off, s[60:63], 0 offset:108
	;; [unrolled: 1-line block ×12, first 2 shown]
	ds_read_b128 v[46:49], v165 offset:272
	s_clause 0x3
	buffer_load_dword v90, off, s[60:63], 0 offset:40
	buffer_load_dword v91, off, s[60:63], 0 offset:44
	;; [unrolled: 1-line block ×4, first 2 shown]
	v_fma_f64 v[52:53], v[244:245], v[16:17], v[52:53]
	v_fma_f64 v[54:55], v[240:241], v[8:9], v[54:55]
	v_fma_f64 v[56:57], v[244:245], v[18:19], -v[56:57]
	v_fma_f64 v[58:59], v[240:241], v[10:11], -v[58:59]
	v_fma_f64 v[64:65], v[252:253], v[24:25], v[64:65]
	v_fma_f64 v[66:67], v[252:253], v[26:27], -v[66:67]
	v_add_f64 v[80:81], v[44:45], v[50:51]
	s_waitcnt lgkmcnt(1)
	v_add_f64 v[8:9], v[4:5], v[44:45]
	v_add_f64 v[84:85], v[40:41], v[42:43]
	v_add_f64 v[18:19], v[40:41], -v[42:43]
	v_fma_f64 v[10:11], v[80:81], -0.5, v[4:5]
	v_add_f64 v[8:9], v[8:9], v[50:51]
	v_fma_f64 v[24:25], v[84:85], -0.5, v[6:7]
	s_waitcnt vmcnt(16)
	v_mul_f64 v[60:61], v[74:75], v[22:23]
	v_mul_f64 v[62:63], v[74:75], v[20:21]
	s_waitcnt vmcnt(12)
	v_mul_f64 v[68:69], v[78:79], v[34:35]
	v_mul_f64 v[70:71], v[78:79], v[32:33]
	;; [unrolled: 3-line block ×3, first 2 shown]
	s_waitcnt vmcnt(4)
	v_mul_f64 v[82:83], v[96:97], v[38:39]
	s_waitcnt vmcnt(0)
	v_mul_f64 v[86:87], v[92:93], v[2:3]
	v_mul_f64 v[88:89], v[96:97], v[36:37]
	;; [unrolled: 1-line block ×3, first 2 shown]
	v_fma_f64 v[60:61], v[72:73], v[20:21], v[60:61]
	v_fma_f64 v[62:63], v[72:73], v[22:23], -v[62:63]
	v_add_f64 v[22:23], v[6:7], v[40:41]
	v_fma_f64 v[26:27], v[76:77], v[32:33], v[68:69]
	v_fma_f64 v[32:33], v[76:77], v[34:35], -v[70:71]
	v_fma_f64 v[68:69], v[98:99], v[28:29], v[78:79]
	v_fma_f64 v[70:71], v[98:99], v[30:31], -v[74:75]
	v_fma_f64 v[28:29], v[94:95], v[36:37], v[82:83]
	v_add_f64 v[30:31], v[44:45], -v[50:51]
	v_fma_f64 v[72:73], v[90:91], v[0:1], v[86:87]
	v_fma_f64 v[34:35], v[94:95], v[38:39], -v[88:89]
	v_fma_f64 v[74:75], v[90:91], v[2:3], -v[16:17]
	s_waitcnt lgkmcnt(0)
	v_add_f64 v[36:37], v[46:47], v[52:53]
	v_add_f64 v[38:39], v[52:53], v[54:55]
	;; [unrolled: 1-line block ×3, first 2 shown]
	ds_read_b128 v[0:3], v165 offset:544
	ds_read_b128 v[4:7], v165 offset:816
	v_fma_f64 v[16:17], v[18:19], s[0:1], v[10:11]
	v_fma_f64 v[20:21], v[18:19], s[2:3], v[10:11]
	v_add_f64 v[44:45], v[60:61], v[64:65]
	v_add_f64 v[50:51], v[62:63], v[66:67]
	;; [unrolled: 1-line block ×5, first 2 shown]
	v_add_f64 v[80:81], v[32:33], -v[70:71]
	v_fma_f64 v[18:19], v[30:31], s[2:3], v[24:25]
	v_add_f64 v[42:43], v[28:29], v[72:73]
	v_fma_f64 v[22:23], v[30:31], s[0:1], v[24:25]
	v_add_f64 v[30:31], v[34:35], v[74:75]
	v_add_f64 v[24:25], v[36:37], v[54:55]
	v_fma_f64 v[36:37], v[38:39], -0.5, v[46:47]
	v_add_f64 v[46:47], v[48:49], v[56:57]
	v_add_f64 v[38:39], v[56:57], -v[58:59]
	v_fma_f64 v[40:41], v[40:41], -0.5, v[48:49]
	v_add_f64 v[48:49], v[52:53], -v[54:55]
	s_waitcnt lgkmcnt(1)
	v_add_f64 v[52:53], v[0:1], v[60:61]
	v_add_f64 v[56:57], v[2:3], v[62:63]
	v_add_f64 v[54:55], v[62:63], -v[66:67]
	v_add_f64 v[60:61], v[60:61], -v[64:65]
	v_fma_f64 v[44:45], v[44:45], -0.5, v[0:1]
	v_fma_f64 v[50:51], v[50:51], -0.5, v[2:3]
	s_waitcnt lgkmcnt(0)
	v_add_f64 v[62:63], v[4:5], v[26:27]
	v_add_f64 v[82:83], v[6:7], v[32:33]
	v_add_f64 v[84:85], v[26:27], -v[68:69]
	v_fma_f64 v[76:77], v[76:77], -0.5, v[4:5]
	v_fma_f64 v[78:79], v[78:79], -0.5, v[6:7]
	v_add_f64 v[86:87], v[12:13], v[28:29]
	v_add_f64 v[92:93], v[14:15], v[34:35]
	v_fma_f64 v[88:89], v[42:43], -0.5, v[12:13]
	v_add_f64 v[90:91], v[34:35], -v[74:75]
	v_fma_f64 v[94:95], v[30:31], -0.5, v[14:15]
	v_add_f64 v[96:97], v[28:29], -v[72:73]
	v_add_f64 v[26:27], v[46:47], v[58:59]
	v_fma_f64 v[0:1], v[38:39], s[0:1], v[36:37]
	v_fma_f64 v[4:5], v[38:39], s[2:3], v[36:37]
	v_fma_f64 v[2:3], v[48:49], s[2:3], v[40:41]
	v_fma_f64 v[6:7], v[48:49], s[0:1], v[40:41]
	v_add_f64 v[12:13], v[52:53], v[64:65]
	v_add_f64 v[14:15], v[56:57], v[66:67]
	v_fma_f64 v[28:29], v[54:55], s[0:1], v[44:45]
	v_fma_f64 v[30:31], v[60:61], s[2:3], v[50:51]
	v_fma_f64 v[32:33], v[54:55], s[2:3], v[44:45]
	v_fma_f64 v[34:35], v[60:61], s[0:1], v[50:51]
	v_add_f64 v[36:37], v[62:63], v[68:69]
	;; [unrolled: 6-line block ×3, first 2 shown]
	v_add_f64 v[50:51], v[92:93], v[74:75]
	v_fma_f64 v[52:53], v[90:91], s[0:1], v[88:89]
	v_fma_f64 v[54:55], v[96:97], s[2:3], v[94:95]
	v_fma_f64 v[56:57], v[90:91], s[2:3], v[88:89]
	v_fma_f64 v[58:59], v[96:97], s[0:1], v[94:95]
	ds_write_b128 v166, v[8:11]
	ds_write_b128 v166, v[16:19] offset:1360
	ds_write_b128 v166, v[20:23] offset:2720
	;; [unrolled: 1-line block ×14, first 2 shown]
	s_waitcnt lgkmcnt(0)
	s_barrier
	buffer_gl0_inv
	s_and_b32 exec_lo, exec_lo, vcc_lo
	s_cbranch_execz .LBB0_15
; %bb.14:
	s_clause 0x1
	buffer_load_dword v19, off, s[60:63], 0 offset:12
	buffer_load_dword v0, off, s[60:63], 0 offset:16
	ds_read_b128 v[7:10], v166
	s_mov_b32 s0, 0x10101010
	s_mov_b32 s1, 0x3f701010
	s_mul_i32 s2, s5, 0xf0
	s_mul_i32 s3, s4, 0xf0
	s_waitcnt vmcnt(1)
	global_load_dwordx4 v[3:6], v19, s[12:13]
	s_waitcnt vmcnt(1)
	v_lshl_add_u32 v2, v0, 4, v19
	ds_read_b128 v[11:14], v2 offset:240
	s_clause 0x1
	buffer_load_dword v15, off, s[60:63], 0
	buffer_load_dword v16, off, s[60:63], 0 offset:4
	s_waitcnt vmcnt(2) lgkmcnt(1)
	v_mul_f64 v[0:1], v[9:10], v[5:6]
	v_mul_f64 v[5:6], v[7:8], v[5:6]
	s_waitcnt vmcnt(1)
	v_mov_b32_e32 v17, v15
	s_waitcnt vmcnt(0)
	v_mad_u64_u32 v[15:16], null, s6, v17, 0
	s_mul_hi_u32 s6, s4, 0xf0
	s_add_i32 s2, s6, s2
	v_fma_f64 v[0:1], v[7:8], v[3:4], v[0:1]
	v_fma_f64 v[5:6], v[3:4], v[9:10], -v[5:6]
	buffer_load_dword v10, off, s[60:63], 0 offset:8 ; 4-byte Folded Reload
	v_mov_b32_e32 v3, v16
	s_waitcnt vmcnt(0)
	v_mad_u64_u32 v[7:8], null, s4, v10, 0
	v_mov_b32_e32 v4, v8
	v_mad_u64_u32 v[8:9], null, s7, v17, v[3:4]
	v_mad_u64_u32 v[9:10], null, s5, v10, v[4:5]
	v_mul_f64 v[3:4], v[0:1], s[0:1]
	v_mul_f64 v[5:6], v[5:6], s[0:1]
	v_mov_b32_e32 v16, v8
	v_mov_b32_e32 v8, v9
	v_lshlrev_b64 v[0:1], 4, v[15:16]
	v_lshlrev_b64 v[7:8], 4, v[7:8]
	v_add_co_u32 v0, vcc_lo, s14, v0
	v_add_co_ci_u32_e32 v1, vcc_lo, s15, v1, vcc_lo
	v_add_co_u32 v7, vcc_lo, v0, v7
	v_add_co_ci_u32_e32 v8, vcc_lo, v1, v8, vcc_lo
	v_add_co_u32 v15, vcc_lo, v7, s3
	global_store_dwordx4 v[7:8], v[3:6], off
	global_load_dwordx4 v[3:6], v19, s[12:13] offset:240
	v_add_co_ci_u32_e32 v16, vcc_lo, s2, v8, vcc_lo
	s_waitcnt vmcnt(0) lgkmcnt(0)
	v_mul_f64 v[9:10], v[13:14], v[5:6]
	v_mul_f64 v[5:6], v[11:12], v[5:6]
	v_fma_f64 v[9:10], v[11:12], v[3:4], v[9:10]
	v_fma_f64 v[5:6], v[3:4], v[13:14], -v[5:6]
	v_mul_f64 v[3:4], v[9:10], s[0:1]
	v_mul_f64 v[5:6], v[5:6], s[0:1]
	global_store_dwordx4 v[15:16], v[3:6], off
	global_load_dwordx4 v[3:6], v19, s[12:13] offset:480
	ds_read_b128 v[7:10], v2 offset:480
	ds_read_b128 v[11:14], v2 offset:720
	s_waitcnt vmcnt(0) lgkmcnt(1)
	v_mul_f64 v[17:18], v[9:10], v[5:6]
	v_mul_f64 v[5:6], v[7:8], v[5:6]
	v_fma_f64 v[7:8], v[7:8], v[3:4], v[17:18]
	v_fma_f64 v[5:6], v[3:4], v[9:10], -v[5:6]
	v_mul_f64 v[3:4], v[7:8], s[0:1]
	v_mul_f64 v[5:6], v[5:6], s[0:1]
	v_add_co_u32 v7, vcc_lo, v15, s3
	v_add_co_ci_u32_e32 v8, vcc_lo, s2, v16, vcc_lo
	v_add_co_u32 v15, vcc_lo, v7, s3
	v_add_co_ci_u32_e32 v16, vcc_lo, s2, v8, vcc_lo
	global_store_dwordx4 v[7:8], v[3:6], off
	global_load_dwordx4 v[3:6], v19, s[12:13] offset:720
	s_waitcnt vmcnt(0) lgkmcnt(0)
	v_mul_f64 v[9:10], v[13:14], v[5:6]
	v_mul_f64 v[5:6], v[11:12], v[5:6]
	v_fma_f64 v[9:10], v[11:12], v[3:4], v[9:10]
	v_fma_f64 v[5:6], v[3:4], v[13:14], -v[5:6]
	v_mul_f64 v[3:4], v[9:10], s[0:1]
	v_mul_f64 v[5:6], v[5:6], s[0:1]
	global_store_dwordx4 v[15:16], v[3:6], off
	global_load_dwordx4 v[3:6], v19, s[12:13] offset:960
	ds_read_b128 v[7:10], v2 offset:960
	ds_read_b128 v[11:14], v2 offset:1200
	s_waitcnt vmcnt(0) lgkmcnt(1)
	v_mul_f64 v[17:18], v[9:10], v[5:6]
	v_mul_f64 v[5:6], v[7:8], v[5:6]
	v_fma_f64 v[7:8], v[7:8], v[3:4], v[17:18]
	v_fma_f64 v[5:6], v[3:4], v[9:10], -v[5:6]
	v_mul_f64 v[3:4], v[7:8], s[0:1]
	v_mul_f64 v[5:6], v[5:6], s[0:1]
	v_add_co_u32 v7, vcc_lo, v15, s3
	v_add_co_ci_u32_e32 v8, vcc_lo, s2, v16, vcc_lo
	v_add_co_u32 v15, vcc_lo, v7, s3
	v_add_co_ci_u32_e32 v16, vcc_lo, s2, v8, vcc_lo
	global_store_dwordx4 v[7:8], v[3:6], off
	global_load_dwordx4 v[3:6], v19, s[12:13] offset:1200
	;; [unrolled: 24-line block ×3, first 2 shown]
	s_waitcnt vmcnt(0) lgkmcnt(0)
	v_mul_f64 v[9:10], v[13:14], v[5:6]
	v_mul_f64 v[5:6], v[11:12], v[5:6]
	v_fma_f64 v[9:10], v[11:12], v[3:4], v[9:10]
	v_fma_f64 v[5:6], v[3:4], v[13:14], -v[5:6]
	v_mul_f64 v[3:4], v[9:10], s[0:1]
	v_mul_f64 v[5:6], v[5:6], s[0:1]
	global_store_dwordx4 v[15:16], v[3:6], off
	global_load_dwordx4 v[3:6], v19, s[12:13] offset:1920
	ds_read_b128 v[7:10], v2 offset:1920
	ds_read_b128 v[11:14], v2 offset:2160
	s_waitcnt vmcnt(0) lgkmcnt(1)
	v_mul_f64 v[17:18], v[9:10], v[5:6]
	v_mul_f64 v[5:6], v[7:8], v[5:6]
	v_fma_f64 v[7:8], v[7:8], v[3:4], v[17:18]
	v_fma_f64 v[5:6], v[3:4], v[9:10], -v[5:6]
	v_add_co_u32 v9, s6, s12, v19
	v_add_co_ci_u32_e64 v10, null, s13, 0, s6
	v_mul_f64 v[3:4], v[7:8], s[0:1]
	v_mul_f64 v[5:6], v[5:6], s[0:1]
	v_add_co_u32 v7, vcc_lo, v15, s3
	v_add_co_ci_u32_e32 v8, vcc_lo, s2, v16, vcc_lo
	v_add_co_u32 v15, vcc_lo, 0x800, v9
	v_add_co_ci_u32_e32 v16, vcc_lo, 0, v10, vcc_lo
	;; [unrolled: 2-line block ×3, first 2 shown]
	global_store_dwordx4 v[7:8], v[3:6], off
	global_load_dwordx4 v[3:6], v[15:16], off offset:112
	s_waitcnt vmcnt(0) lgkmcnt(0)
	v_mul_f64 v[9:10], v[13:14], v[5:6]
	v_mul_f64 v[5:6], v[11:12], v[5:6]
	v_fma_f64 v[9:10], v[11:12], v[3:4], v[9:10]
	v_fma_f64 v[5:6], v[3:4], v[13:14], -v[5:6]
	v_mul_f64 v[3:4], v[9:10], s[0:1]
	v_mul_f64 v[5:6], v[5:6], s[0:1]
	global_store_dwordx4 v[17:18], v[3:6], off
	global_load_dwordx4 v[3:6], v[15:16], off offset:352
	ds_read_b128 v[7:10], v2 offset:2400
	ds_read_b128 v[11:14], v2 offset:2640
	s_waitcnt vmcnt(0) lgkmcnt(1)
	v_mul_f64 v[19:20], v[9:10], v[5:6]
	v_mul_f64 v[5:6], v[7:8], v[5:6]
	v_fma_f64 v[7:8], v[7:8], v[3:4], v[19:20]
	v_fma_f64 v[5:6], v[3:4], v[9:10], -v[5:6]
	v_mul_f64 v[3:4], v[7:8], s[0:1]
	v_mul_f64 v[5:6], v[5:6], s[0:1]
	v_add_co_u32 v7, vcc_lo, v17, s3
	v_add_co_ci_u32_e32 v8, vcc_lo, s2, v18, vcc_lo
	v_add_co_u32 v17, vcc_lo, v7, s3
	v_add_co_ci_u32_e32 v18, vcc_lo, s2, v8, vcc_lo
	global_store_dwordx4 v[7:8], v[3:6], off
	global_load_dwordx4 v[3:6], v[15:16], off offset:592
	s_waitcnt vmcnt(0) lgkmcnt(0)
	v_mul_f64 v[9:10], v[13:14], v[5:6]
	v_mul_f64 v[5:6], v[11:12], v[5:6]
	v_fma_f64 v[9:10], v[11:12], v[3:4], v[9:10]
	v_fma_f64 v[5:6], v[3:4], v[13:14], -v[5:6]
	v_mul_f64 v[3:4], v[9:10], s[0:1]
	v_mul_f64 v[5:6], v[5:6], s[0:1]
	global_store_dwordx4 v[17:18], v[3:6], off
	global_load_dwordx4 v[3:6], v[15:16], off offset:832
	ds_read_b128 v[7:10], v2 offset:2880
	ds_read_b128 v[11:14], v2 offset:3120
	s_waitcnt vmcnt(0) lgkmcnt(1)
	v_mul_f64 v[19:20], v[9:10], v[5:6]
	v_mul_f64 v[5:6], v[7:8], v[5:6]
	v_fma_f64 v[7:8], v[7:8], v[3:4], v[19:20]
	v_fma_f64 v[5:6], v[3:4], v[9:10], -v[5:6]
	v_mul_f64 v[3:4], v[7:8], s[0:1]
	v_mul_f64 v[5:6], v[5:6], s[0:1]
	v_add_co_u32 v7, vcc_lo, v17, s3
	v_add_co_ci_u32_e32 v8, vcc_lo, s2, v18, vcc_lo
	v_add_co_u32 v17, vcc_lo, v7, s3
	v_add_co_ci_u32_e32 v18, vcc_lo, s2, v8, vcc_lo
	global_store_dwordx4 v[7:8], v[3:6], off
	global_load_dwordx4 v[3:6], v[15:16], off offset:1072
	s_waitcnt vmcnt(0) lgkmcnt(0)
	v_mul_f64 v[9:10], v[13:14], v[5:6]
	v_mul_f64 v[5:6], v[11:12], v[5:6]
	v_fma_f64 v[9:10], v[11:12], v[3:4], v[9:10]
	v_fma_f64 v[5:6], v[3:4], v[13:14], -v[5:6]
	v_mul_f64 v[3:4], v[9:10], s[0:1]
	v_mul_f64 v[5:6], v[5:6], s[0:1]
	global_store_dwordx4 v[17:18], v[3:6], off
	global_load_dwordx4 v[3:6], v[15:16], off offset:1312
	ds_read_b128 v[7:10], v2 offset:3360
	ds_read_b128 v[11:14], v2 offset:3600
	s_waitcnt vmcnt(0) lgkmcnt(1)
	v_mul_f64 v[19:20], v[9:10], v[5:6]
	v_mul_f64 v[5:6], v[7:8], v[5:6]
	v_fma_f64 v[7:8], v[7:8], v[3:4], v[19:20]
	v_fma_f64 v[5:6], v[3:4], v[9:10], -v[5:6]
	v_mul_f64 v[3:4], v[7:8], s[0:1]
	v_mul_f64 v[5:6], v[5:6], s[0:1]
	v_add_co_u32 v7, vcc_lo, v17, s3
	v_add_co_ci_u32_e32 v8, vcc_lo, s2, v18, vcc_lo
	global_store_dwordx4 v[7:8], v[3:6], off
	global_load_dwordx4 v[3:6], v[15:16], off offset:1552
	v_add_co_u32 v7, vcc_lo, v7, s3
	v_add_co_ci_u32_e32 v8, vcc_lo, s2, v8, vcc_lo
	s_waitcnt vmcnt(0) lgkmcnt(0)
	v_mul_f64 v[9:10], v[13:14], v[5:6]
	v_mul_f64 v[5:6], v[11:12], v[5:6]
	v_fma_f64 v[9:10], v[11:12], v[3:4], v[9:10]
	v_fma_f64 v[5:6], v[3:4], v[13:14], -v[5:6]
	v_mul_f64 v[3:4], v[9:10], s[0:1]
	v_mul_f64 v[5:6], v[5:6], s[0:1]
	v_lshlrev_b32_e32 v9, 4, v164
	global_store_dwordx4 v[7:8], v[3:6], off
	global_load_dwordx4 v[3:6], v9, s[12:13]
	ds_read_b128 v[7:10], v2 offset:3840
	s_waitcnt vmcnt(0) lgkmcnt(0)
	v_mul_f64 v[11:12], v[9:10], v[5:6]
	v_mul_f64 v[5:6], v[7:8], v[5:6]
	v_fma_f64 v[7:8], v[7:8], v[3:4], v[11:12]
	v_fma_f64 v[4:5], v[3:4], v[9:10], -v[5:6]
	v_mad_u64_u32 v[9:10], null, s4, v164, 0
	v_mov_b32_e32 v2, v10
	v_mad_u64_u32 v[10:11], null, s5, v164, v[2:3]
	v_mul_f64 v[2:3], v[7:8], s[0:1]
	v_mul_f64 v[4:5], v[4:5], s[0:1]
	v_lshlrev_b64 v[6:7], 4, v[9:10]
	v_add_co_u32 v0, vcc_lo, v0, v6
	v_add_co_ci_u32_e32 v1, vcc_lo, v1, v7, vcc_lo
	global_store_dwordx4 v[0:1], v[2:5], off
.LBB0_15:
	s_endpgm
	.section	.rodata,"a",@progbits
	.p2align	6, 0x0
	.amdhsa_kernel bluestein_single_back_len255_dim1_dp_op_CI_CI
		.amdhsa_group_segment_fixed_size 12240
		.amdhsa_private_segment_fixed_size 280
		.amdhsa_kernarg_size 104
		.amdhsa_user_sgpr_count 6
		.amdhsa_user_sgpr_private_segment_buffer 1
		.amdhsa_user_sgpr_dispatch_ptr 0
		.amdhsa_user_sgpr_queue_ptr 0
		.amdhsa_user_sgpr_kernarg_segment_ptr 1
		.amdhsa_user_sgpr_dispatch_id 0
		.amdhsa_user_sgpr_flat_scratch_init 0
		.amdhsa_user_sgpr_private_segment_size 0
		.amdhsa_wavefront_size32 1
		.amdhsa_uses_dynamic_stack 0
		.amdhsa_system_sgpr_private_segment_wavefront_offset 1
		.amdhsa_system_sgpr_workgroup_id_x 1
		.amdhsa_system_sgpr_workgroup_id_y 0
		.amdhsa_system_sgpr_workgroup_id_z 0
		.amdhsa_system_sgpr_workgroup_info 0
		.amdhsa_system_vgpr_workitem_id 0
		.amdhsa_next_free_vgpr 256
		.amdhsa_next_free_sgpr 64
		.amdhsa_reserve_vcc 1
		.amdhsa_reserve_flat_scratch 0
		.amdhsa_float_round_mode_32 0
		.amdhsa_float_round_mode_16_64 0
		.amdhsa_float_denorm_mode_32 3
		.amdhsa_float_denorm_mode_16_64 3
		.amdhsa_dx10_clamp 1
		.amdhsa_ieee_mode 1
		.amdhsa_fp16_overflow 0
		.amdhsa_workgroup_processor_mode 1
		.amdhsa_memory_ordered 1
		.amdhsa_forward_progress 0
		.amdhsa_shared_vgpr_count 0
		.amdhsa_exception_fp_ieee_invalid_op 0
		.amdhsa_exception_fp_denorm_src 0
		.amdhsa_exception_fp_ieee_div_zero 0
		.amdhsa_exception_fp_ieee_overflow 0
		.amdhsa_exception_fp_ieee_underflow 0
		.amdhsa_exception_fp_ieee_inexact 0
		.amdhsa_exception_int_div_zero 0
	.end_amdhsa_kernel
	.text
.Lfunc_end0:
	.size	bluestein_single_back_len255_dim1_dp_op_CI_CI, .Lfunc_end0-bluestein_single_back_len255_dim1_dp_op_CI_CI
                                        ; -- End function
	.section	.AMDGPU.csdata,"",@progbits
; Kernel info:
; codeLenInByte = 26076
; NumSgprs: 66
; NumVgprs: 256
; ScratchSize: 280
; MemoryBound: 0
; FloatMode: 240
; IeeeMode: 1
; LDSByteSize: 12240 bytes/workgroup (compile time only)
; SGPRBlocks: 8
; VGPRBlocks: 31
; NumSGPRsForWavesPerEU: 66
; NumVGPRsForWavesPerEU: 256
; Occupancy: 4
; WaveLimiterHint : 1
; COMPUTE_PGM_RSRC2:SCRATCH_EN: 1
; COMPUTE_PGM_RSRC2:USER_SGPR: 6
; COMPUTE_PGM_RSRC2:TRAP_HANDLER: 0
; COMPUTE_PGM_RSRC2:TGID_X_EN: 1
; COMPUTE_PGM_RSRC2:TGID_Y_EN: 0
; COMPUTE_PGM_RSRC2:TGID_Z_EN: 0
; COMPUTE_PGM_RSRC2:TIDIG_COMP_CNT: 0
	.text
	.p2alignl 6, 3214868480
	.fill 48, 4, 3214868480
	.type	__hip_cuid_2fef6d443ded5042,@object ; @__hip_cuid_2fef6d443ded5042
	.section	.bss,"aw",@nobits
	.globl	__hip_cuid_2fef6d443ded5042
__hip_cuid_2fef6d443ded5042:
	.byte	0                               ; 0x0
	.size	__hip_cuid_2fef6d443ded5042, 1

	.ident	"AMD clang version 19.0.0git (https://github.com/RadeonOpenCompute/llvm-project roc-6.4.0 25133 c7fe45cf4b819c5991fe208aaa96edf142730f1d)"
	.section	".note.GNU-stack","",@progbits
	.addrsig
	.addrsig_sym __hip_cuid_2fef6d443ded5042
	.amdgpu_metadata
---
amdhsa.kernels:
  - .args:
      - .actual_access:  read_only
        .address_space:  global
        .offset:         0
        .size:           8
        .value_kind:     global_buffer
      - .actual_access:  read_only
        .address_space:  global
        .offset:         8
        .size:           8
        .value_kind:     global_buffer
      - .actual_access:  read_only
        .address_space:  global
        .offset:         16
        .size:           8
        .value_kind:     global_buffer
      - .actual_access:  read_only
        .address_space:  global
        .offset:         24
        .size:           8
        .value_kind:     global_buffer
      - .actual_access:  read_only
        .address_space:  global
        .offset:         32
        .size:           8
        .value_kind:     global_buffer
      - .offset:         40
        .size:           8
        .value_kind:     by_value
      - .address_space:  global
        .offset:         48
        .size:           8
        .value_kind:     global_buffer
      - .address_space:  global
        .offset:         56
        .size:           8
        .value_kind:     global_buffer
      - .address_space:  global
        .offset:         64
        .size:           8
        .value_kind:     global_buffer
      - .address_space:  global
        .offset:         72
        .size:           8
        .value_kind:     global_buffer
      - .offset:         80
        .size:           4
        .value_kind:     by_value
      - .address_space:  global
        .offset:         88
        .size:           8
        .value_kind:     global_buffer
      - .address_space:  global
        .offset:         96
        .size:           8
        .value_kind:     global_buffer
    .group_segment_fixed_size: 12240
    .kernarg_segment_align: 8
    .kernarg_segment_size: 104
    .language:       OpenCL C
    .language_version:
      - 2
      - 0
    .max_flat_workgroup_size: 51
    .name:           bluestein_single_back_len255_dim1_dp_op_CI_CI
    .private_segment_fixed_size: 280
    .sgpr_count:     66
    .sgpr_spill_count: 0
    .symbol:         bluestein_single_back_len255_dim1_dp_op_CI_CI.kd
    .uniform_work_group_size: 1
    .uses_dynamic_stack: false
    .vgpr_count:     256
    .vgpr_spill_count: 69
    .wavefront_size: 32
    .workgroup_processor_mode: 1
amdhsa.target:   amdgcn-amd-amdhsa--gfx1030
amdhsa.version:
  - 1
  - 2
...

	.end_amdgpu_metadata
